;; amdgpu-corpus repo=ROCm/rocFFT kind=compiled arch=gfx1201 opt=O3
	.text
	.amdgcn_target "amdgcn-amd-amdhsa--gfx1201"
	.amdhsa_code_object_version 6
	.protected	fft_rtc_fwd_len1122_factors_17_11_6_wgs_204_tpt_102_halfLds_dp_ip_CI_sbrr_dirReg ; -- Begin function fft_rtc_fwd_len1122_factors_17_11_6_wgs_204_tpt_102_halfLds_dp_ip_CI_sbrr_dirReg
	.globl	fft_rtc_fwd_len1122_factors_17_11_6_wgs_204_tpt_102_halfLds_dp_ip_CI_sbrr_dirReg
	.p2align	8
	.type	fft_rtc_fwd_len1122_factors_17_11_6_wgs_204_tpt_102_halfLds_dp_ip_CI_sbrr_dirReg,@function
fft_rtc_fwd_len1122_factors_17_11_6_wgs_204_tpt_102_halfLds_dp_ip_CI_sbrr_dirReg: ; @fft_rtc_fwd_len1122_factors_17_11_6_wgs_204_tpt_102_halfLds_dp_ip_CI_sbrr_dirReg
; %bb.0:
	s_clause 0x2
	s_load_b64 s[12:13], s[0:1], 0x18
	s_load_b128 s[4:7], s[0:1], 0x0
	s_load_b64 s[10:11], s[0:1], 0x50
	v_mul_u32_u24_e32 v1, 0x283, v0
	v_mov_b32_e32 v3, 0
	s_delay_alu instid0(VALU_DEP_2) | instskip(SKIP_2) | instid1(VALU_DEP_4)
	v_lshrrev_b32_e32 v121, 16, v1
	v_mov_b32_e32 v1, 0
	v_mov_b32_e32 v2, 0
	;; [unrolled: 1-line block ×3, first 2 shown]
	s_delay_alu instid0(VALU_DEP_4) | instskip(SKIP_3) | instid1(VALU_DEP_1)
	v_lshl_add_u32 v5, ttmp9, 1, v121
	s_wait_kmcnt 0x0
	s_load_b64 s[8:9], s[12:13], 0x0
	v_cmp_lt_u64_e64 s2, s[6:7], 2
	s_and_b32 vcc_lo, exec_lo, s2
	s_cbranch_vccnz .LBB0_8
; %bb.1:
	s_load_b64 s[2:3], s[0:1], 0x10
	v_mov_b32_e32 v1, 0
	v_mov_b32_e32 v2, 0
	s_add_nc_u64 s[14:15], s[12:13], 8
	s_mov_b64 s[16:17], 1
	s_wait_kmcnt 0x0
	s_add_nc_u64 s[18:19], s[2:3], 8
	s_mov_b32 s3, 0
.LBB0_2:                                ; =>This Inner Loop Header: Depth=1
	s_load_b64 s[20:21], s[18:19], 0x0
                                        ; implicit-def: $vgpr7_vgpr8
	s_mov_b32 s2, exec_lo
	s_wait_kmcnt 0x0
	v_or_b32_e32 v4, s21, v6
	s_delay_alu instid0(VALU_DEP_1)
	v_cmpx_ne_u64_e32 0, v[3:4]
	s_wait_alu 0xfffe
	s_xor_b32 s22, exec_lo, s2
	s_cbranch_execz .LBB0_4
; %bb.3:                                ;   in Loop: Header=BB0_2 Depth=1
	s_cvt_f32_u32 s2, s20
	s_cvt_f32_u32 s23, s21
	s_sub_nc_u64 s[26:27], 0, s[20:21]
	s_wait_alu 0xfffe
	s_delay_alu instid0(SALU_CYCLE_1) | instskip(SKIP_1) | instid1(SALU_CYCLE_2)
	s_fmamk_f32 s2, s23, 0x4f800000, s2
	s_wait_alu 0xfffe
	v_s_rcp_f32 s2, s2
	s_delay_alu instid0(TRANS32_DEP_1) | instskip(SKIP_1) | instid1(SALU_CYCLE_2)
	s_mul_f32 s2, s2, 0x5f7ffffc
	s_wait_alu 0xfffe
	s_mul_f32 s23, s2, 0x2f800000
	s_wait_alu 0xfffe
	s_delay_alu instid0(SALU_CYCLE_2) | instskip(SKIP_1) | instid1(SALU_CYCLE_2)
	s_trunc_f32 s23, s23
	s_wait_alu 0xfffe
	s_fmamk_f32 s2, s23, 0xcf800000, s2
	s_cvt_u32_f32 s25, s23
	s_wait_alu 0xfffe
	s_delay_alu instid0(SALU_CYCLE_1) | instskip(SKIP_1) | instid1(SALU_CYCLE_2)
	s_cvt_u32_f32 s24, s2
	s_wait_alu 0xfffe
	s_mul_u64 s[28:29], s[26:27], s[24:25]
	s_wait_alu 0xfffe
	s_mul_hi_u32 s31, s24, s29
	s_mul_i32 s30, s24, s29
	s_mul_hi_u32 s2, s24, s28
	s_mul_i32 s33, s25, s28
	s_wait_alu 0xfffe
	s_add_nc_u64 s[30:31], s[2:3], s[30:31]
	s_mul_hi_u32 s23, s25, s28
	s_mul_hi_u32 s34, s25, s29
	s_add_co_u32 s2, s30, s33
	s_wait_alu 0xfffe
	s_add_co_ci_u32 s2, s31, s23
	s_mul_i32 s28, s25, s29
	s_add_co_ci_u32 s29, s34, 0
	s_wait_alu 0xfffe
	s_add_nc_u64 s[28:29], s[2:3], s[28:29]
	s_wait_alu 0xfffe
	v_add_co_u32 v4, s2, s24, s28
	s_delay_alu instid0(VALU_DEP_1) | instskip(SKIP_1) | instid1(VALU_DEP_1)
	s_cmp_lg_u32 s2, 0
	s_add_co_ci_u32 s25, s25, s29
	v_readfirstlane_b32 s24, v4
	s_wait_alu 0xfffe
	s_delay_alu instid0(VALU_DEP_1)
	s_mul_u64 s[26:27], s[26:27], s[24:25]
	s_wait_alu 0xfffe
	s_mul_hi_u32 s29, s24, s27
	s_mul_i32 s28, s24, s27
	s_mul_hi_u32 s2, s24, s26
	s_mul_i32 s30, s25, s26
	s_wait_alu 0xfffe
	s_add_nc_u64 s[28:29], s[2:3], s[28:29]
	s_mul_hi_u32 s23, s25, s26
	s_mul_hi_u32 s24, s25, s27
	s_wait_alu 0xfffe
	s_add_co_u32 s2, s28, s30
	s_add_co_ci_u32 s2, s29, s23
	s_mul_i32 s26, s25, s27
	s_add_co_ci_u32 s27, s24, 0
	s_wait_alu 0xfffe
	s_add_nc_u64 s[26:27], s[2:3], s[26:27]
	s_wait_alu 0xfffe
	v_add_co_u32 v4, s2, v4, s26
	s_delay_alu instid0(VALU_DEP_1) | instskip(SKIP_1) | instid1(VALU_DEP_1)
	s_cmp_lg_u32 s2, 0
	s_add_co_ci_u32 s2, s25, s27
	v_mul_hi_u32 v13, v5, v4
	s_wait_alu 0xfffe
	v_mad_co_u64_u32 v[7:8], null, v5, s2, 0
	v_mad_co_u64_u32 v[9:10], null, v6, v4, 0
	;; [unrolled: 1-line block ×3, first 2 shown]
	s_delay_alu instid0(VALU_DEP_3) | instskip(SKIP_1) | instid1(VALU_DEP_4)
	v_add_co_u32 v4, vcc_lo, v13, v7
	s_wait_alu 0xfffd
	v_add_co_ci_u32_e32 v7, vcc_lo, 0, v8, vcc_lo
	s_delay_alu instid0(VALU_DEP_2) | instskip(SKIP_1) | instid1(VALU_DEP_2)
	v_add_co_u32 v4, vcc_lo, v4, v9
	s_wait_alu 0xfffd
	v_add_co_ci_u32_e32 v4, vcc_lo, v7, v10, vcc_lo
	s_wait_alu 0xfffd
	v_add_co_ci_u32_e32 v7, vcc_lo, 0, v12, vcc_lo
	s_delay_alu instid0(VALU_DEP_2) | instskip(SKIP_1) | instid1(VALU_DEP_2)
	v_add_co_u32 v4, vcc_lo, v4, v11
	s_wait_alu 0xfffd
	v_add_co_ci_u32_e32 v9, vcc_lo, 0, v7, vcc_lo
	s_delay_alu instid0(VALU_DEP_2) | instskip(SKIP_1) | instid1(VALU_DEP_3)
	v_mul_lo_u32 v10, s21, v4
	v_mad_co_u64_u32 v[7:8], null, s20, v4, 0
	v_mul_lo_u32 v11, s20, v9
	s_delay_alu instid0(VALU_DEP_2) | instskip(NEXT) | instid1(VALU_DEP_2)
	v_sub_co_u32 v7, vcc_lo, v5, v7
	v_add3_u32 v8, v8, v11, v10
	s_delay_alu instid0(VALU_DEP_1) | instskip(SKIP_1) | instid1(VALU_DEP_1)
	v_sub_nc_u32_e32 v10, v6, v8
	s_wait_alu 0xfffd
	v_subrev_co_ci_u32_e64 v10, s2, s21, v10, vcc_lo
	v_add_co_u32 v11, s2, v4, 2
	s_wait_alu 0xf1ff
	v_add_co_ci_u32_e64 v12, s2, 0, v9, s2
	v_sub_co_u32 v13, s2, v7, s20
	v_sub_co_ci_u32_e32 v8, vcc_lo, v6, v8, vcc_lo
	s_wait_alu 0xf1ff
	v_subrev_co_ci_u32_e64 v10, s2, 0, v10, s2
	s_delay_alu instid0(VALU_DEP_3) | instskip(NEXT) | instid1(VALU_DEP_3)
	v_cmp_le_u32_e32 vcc_lo, s20, v13
	v_cmp_eq_u32_e64 s2, s21, v8
	s_wait_alu 0xfffd
	v_cndmask_b32_e64 v13, 0, -1, vcc_lo
	v_cmp_le_u32_e32 vcc_lo, s21, v10
	s_wait_alu 0xfffd
	v_cndmask_b32_e64 v14, 0, -1, vcc_lo
	v_cmp_le_u32_e32 vcc_lo, s20, v7
	;; [unrolled: 3-line block ×3, first 2 shown]
	s_wait_alu 0xfffd
	v_cndmask_b32_e64 v15, 0, -1, vcc_lo
	v_cmp_eq_u32_e32 vcc_lo, s21, v10
	s_wait_alu 0xf1ff
	s_delay_alu instid0(VALU_DEP_2)
	v_cndmask_b32_e64 v7, v15, v7, s2
	s_wait_alu 0xfffd
	v_cndmask_b32_e32 v10, v14, v13, vcc_lo
	v_add_co_u32 v13, vcc_lo, v4, 1
	s_wait_alu 0xfffd
	v_add_co_ci_u32_e32 v14, vcc_lo, 0, v9, vcc_lo
	s_delay_alu instid0(VALU_DEP_3) | instskip(SKIP_2) | instid1(VALU_DEP_3)
	v_cmp_ne_u32_e32 vcc_lo, 0, v10
	s_wait_alu 0xfffd
	v_cndmask_b32_e32 v10, v13, v11, vcc_lo
	v_cndmask_b32_e32 v8, v14, v12, vcc_lo
	v_cmp_ne_u32_e32 vcc_lo, 0, v7
	s_wait_alu 0xfffd
	s_delay_alu instid0(VALU_DEP_2)
	v_dual_cndmask_b32 v7, v4, v10 :: v_dual_cndmask_b32 v8, v9, v8
.LBB0_4:                                ;   in Loop: Header=BB0_2 Depth=1
	s_wait_alu 0xfffe
	s_and_not1_saveexec_b32 s2, s22
	s_cbranch_execz .LBB0_6
; %bb.5:                                ;   in Loop: Header=BB0_2 Depth=1
	v_cvt_f32_u32_e32 v4, s20
	s_sub_co_i32 s22, 0, s20
	s_delay_alu instid0(VALU_DEP_1) | instskip(NEXT) | instid1(TRANS32_DEP_1)
	v_rcp_iflag_f32_e32 v4, v4
	v_mul_f32_e32 v4, 0x4f7ffffe, v4
	s_delay_alu instid0(VALU_DEP_1) | instskip(SKIP_1) | instid1(VALU_DEP_1)
	v_cvt_u32_f32_e32 v4, v4
	s_wait_alu 0xfffe
	v_mul_lo_u32 v7, s22, v4
	s_delay_alu instid0(VALU_DEP_1) | instskip(NEXT) | instid1(VALU_DEP_1)
	v_mul_hi_u32 v7, v4, v7
	v_add_nc_u32_e32 v4, v4, v7
	s_delay_alu instid0(VALU_DEP_1) | instskip(NEXT) | instid1(VALU_DEP_1)
	v_mul_hi_u32 v4, v5, v4
	v_mul_lo_u32 v7, v4, s20
	v_add_nc_u32_e32 v8, 1, v4
	s_delay_alu instid0(VALU_DEP_2) | instskip(NEXT) | instid1(VALU_DEP_1)
	v_sub_nc_u32_e32 v7, v5, v7
	v_subrev_nc_u32_e32 v9, s20, v7
	v_cmp_le_u32_e32 vcc_lo, s20, v7
	s_wait_alu 0xfffd
	s_delay_alu instid0(VALU_DEP_2) | instskip(NEXT) | instid1(VALU_DEP_1)
	v_dual_cndmask_b32 v7, v7, v9 :: v_dual_cndmask_b32 v4, v4, v8
	v_cmp_le_u32_e32 vcc_lo, s20, v7
	s_delay_alu instid0(VALU_DEP_2) | instskip(SKIP_1) | instid1(VALU_DEP_1)
	v_add_nc_u32_e32 v8, 1, v4
	s_wait_alu 0xfffd
	v_dual_cndmask_b32 v7, v4, v8 :: v_dual_mov_b32 v8, v3
.LBB0_6:                                ;   in Loop: Header=BB0_2 Depth=1
	s_wait_alu 0xfffe
	s_or_b32 exec_lo, exec_lo, s2
	s_load_b64 s[22:23], s[14:15], 0x0
	s_delay_alu instid0(VALU_DEP_1)
	v_mul_lo_u32 v4, v8, s20
	v_mul_lo_u32 v11, v7, s21
	v_mad_co_u64_u32 v[9:10], null, v7, s20, 0
	s_add_nc_u64 s[16:17], s[16:17], 1
	s_add_nc_u64 s[14:15], s[14:15], 8
	s_wait_alu 0xfffe
	v_cmp_ge_u64_e64 s2, s[16:17], s[6:7]
	s_add_nc_u64 s[18:19], s[18:19], 8
	s_delay_alu instid0(VALU_DEP_2) | instskip(NEXT) | instid1(VALU_DEP_3)
	v_add3_u32 v4, v10, v11, v4
	v_sub_co_u32 v5, vcc_lo, v5, v9
	s_wait_alu 0xfffd
	s_delay_alu instid0(VALU_DEP_2) | instskip(SKIP_3) | instid1(VALU_DEP_2)
	v_sub_co_ci_u32_e32 v4, vcc_lo, v6, v4, vcc_lo
	s_and_b32 vcc_lo, exec_lo, s2
	s_wait_kmcnt 0x0
	v_mul_lo_u32 v6, s23, v5
	v_mul_lo_u32 v4, s22, v4
	v_mad_co_u64_u32 v[1:2], null, s22, v5, v[1:2]
	s_delay_alu instid0(VALU_DEP_1)
	v_add3_u32 v2, v6, v2, v4
	s_wait_alu 0xfffe
	s_cbranch_vccnz .LBB0_9
; %bb.7:                                ;   in Loop: Header=BB0_2 Depth=1
	v_dual_mov_b32 v5, v7 :: v_dual_mov_b32 v6, v8
	s_branch .LBB0_2
.LBB0_8:
	v_dual_mov_b32 v8, v6 :: v_dual_mov_b32 v7, v5
.LBB0_9:
	s_lshl_b64 s[2:3], s[6:7], 3
	v_mul_hi_u32 v3, 0x2828283, v0
	s_wait_alu 0xfffe
	s_add_nc_u64 s[2:3], s[12:13], s[2:3]
                                        ; implicit-def: $vgpr12_vgpr13
                                        ; implicit-def: $vgpr16_vgpr17
                                        ; implicit-def: $vgpr24_vgpr25
                                        ; implicit-def: $vgpr28_vgpr29
                                        ; implicit-def: $vgpr36_vgpr37
                                        ; implicit-def: $vgpr44_vgpr45
                                        ; implicit-def: $vgpr32_vgpr33
                                        ; implicit-def: $vgpr40_vgpr41
                                        ; implicit-def: $vgpr52_vgpr53
                                        ; implicit-def: $vgpr72_vgpr73
                                        ; implicit-def: $vgpr56_vgpr57
                                        ; implicit-def: $vgpr60_vgpr61
                                        ; implicit-def: $vgpr64_vgpr65
                                        ; implicit-def: $vgpr68_vgpr69
                                        ; implicit-def: $vgpr48_vgpr49
                                        ; implicit-def: $vgpr20_vgpr21
	s_load_b64 s[2:3], s[2:3], 0x0
	s_load_b64 s[0:1], s[0:1], 0x20
	s_delay_alu instid0(VALU_DEP_1) | instskip(NEXT) | instid1(VALU_DEP_1)
	v_mul_u32_u24_e32 v3, 0x66, v3
	v_sub_nc_u32_e32 v120, v0, v3
	s_wait_kmcnt 0x0
	v_mul_lo_u32 v4, s2, v8
	v_mul_lo_u32 v5, s3, v7
	v_mad_co_u64_u32 v[1:2], null, s2, v7, v[1:2]
	v_cmp_gt_u64_e32 vcc_lo, s[0:1], v[7:8]
	v_cmp_gt_u32_e64 s0, 0x42, v120
                                        ; implicit-def: $vgpr8_vgpr9
	s_delay_alu instid0(VALU_DEP_1) | instskip(NEXT) | instid1(VALU_DEP_3)
	s_and_b32 s1, vcc_lo, s0
	v_add3_u32 v2, v5, v2, v4
	s_delay_alu instid0(VALU_DEP_1)
	v_lshlrev_b64_e32 v[94:95], 4, v[1:2]
	s_wait_alu 0xfffe
	s_and_saveexec_b32 s2, s1
	s_cbranch_execz .LBB0_11
; %bb.10:
	v_add_nc_u32_e32 v9, 0x42, v120
	v_mad_co_u64_u32 v[0:1], null, s8, v120, 0
	v_add_nc_u32_e32 v11, 0x84, v120
	v_add_co_u32 v17, s1, s10, v94
	s_delay_alu instid0(VALU_DEP_4)
	v_mad_co_u64_u32 v[2:3], null, s8, v9, 0
	v_add_nc_u32_e32 v12, 0xc6, v120
	s_wait_alu 0xf1ff
	v_add_co_ci_u32_e64 v22, s1, s11, v95, s1
	v_add_nc_u32_e32 v24, 0x420, v120
	v_add_nc_u32_e32 v14, 0x18c, v120
	;; [unrolled: 1-line block ×3, first 2 shown]
	v_mad_co_u64_u32 v[4:5], null, s9, v120, v[1:2]
	v_mov_b32_e32 v1, v3
	v_mad_co_u64_u32 v[5:6], null, s8, v11, 0
	v_mad_co_u64_u32 v[7:8], null, s8, v12, 0
	s_delay_alu instid0(VALU_DEP_3) | instskip(NEXT) | instid1(VALU_DEP_3)
	v_mad_co_u64_u32 v[9:10], null, s9, v9, v[1:2]
	v_dual_mov_b32 v1, v4 :: v_dual_mov_b32 v4, v6
	s_delay_alu instid0(VALU_DEP_1) | instskip(NEXT) | instid1(VALU_DEP_3)
	v_lshlrev_b64_e32 v[0:1], 4, v[0:1]
	v_mov_b32_e32 v3, v9
	s_delay_alu instid0(VALU_DEP_3) | instskip(NEXT) | instid1(VALU_DEP_2)
	v_mad_co_u64_u32 v[9:10], null, s9, v11, v[4:5]
	v_lshlrev_b64_e32 v[2:3], 4, v[2:3]
	s_delay_alu instid0(VALU_DEP_4) | instskip(SKIP_2) | instid1(VALU_DEP_4)
	v_add_co_u32 v0, s1, v17, v0
	s_wait_alu 0xf1ff
	v_add_co_ci_u32_e64 v1, s1, v22, v1, s1
	v_mov_b32_e32 v6, v9
	s_delay_alu instid0(VALU_DEP_4)
	v_add_co_u32 v2, s1, v17, v2
	v_mad_co_u64_u32 v[8:9], null, s9, v12, v[8:9]
	v_add_nc_u32_e32 v9, 0x14a, v120
	s_wait_alu 0xf1ff
	v_add_co_ci_u32_e64 v3, s1, v22, v3, s1
	s_clause 0x1
	global_load_b128 v[18:21], v[0:1], off
	global_load_b128 v[46:49], v[2:3], off
	v_mad_co_u64_u32 v[3:4], null, s8, v9, 0
	v_add_nc_u32_e32 v13, 0x108, v120
	v_lshlrev_b64_e32 v[0:1], 4, v[5:6]
	s_delay_alu instid0(VALU_DEP_2) | instskip(NEXT) | instid1(VALU_DEP_2)
	v_mad_co_u64_u32 v[10:11], null, s8, v13, 0
	v_add_co_u32 v0, s1, v17, v0
	s_wait_alu 0xf1ff
	s_delay_alu instid0(VALU_DEP_3) | instskip(NEXT) | instid1(VALU_DEP_3)
	v_add_co_ci_u32_e64 v1, s1, v22, v1, s1
	v_mov_b32_e32 v2, v11
	s_delay_alu instid0(VALU_DEP_1) | instskip(SKIP_2) | instid1(VALU_DEP_3)
	v_mad_co_u64_u32 v[5:6], null, s9, v13, v[2:3]
	v_mov_b32_e32 v2, v4
	v_lshlrev_b64_e32 v[6:7], 4, v[7:8]
	v_mov_b32_e32 v11, v5
	s_delay_alu instid0(VALU_DEP_3) | instskip(SKIP_1) | instid1(VALU_DEP_4)
	v_mad_co_u64_u32 v[4:5], null, s9, v9, v[2:3]
	v_mad_co_u64_u32 v[8:9], null, s8, v14, 0
	v_add_co_u32 v5, s1, v17, v6
	s_wait_alu 0xf1ff
	v_add_co_ci_u32_e64 v6, s1, v22, v7, s1
	v_add_nc_u32_e32 v7, 0x1ce, v120
	v_lshlrev_b64_e32 v[3:4], 4, v[3:4]
	v_mov_b32_e32 v2, v9
	v_lshlrev_b64_e32 v[10:11], 4, v[10:11]
	s_delay_alu instid0(VALU_DEP_4) | instskip(NEXT) | instid1(VALU_DEP_3)
	v_mad_co_u64_u32 v[12:13], null, s8, v7, 0
	v_mad_co_u64_u32 v[14:15], null, s9, v14, v[2:3]
	s_delay_alu instid0(VALU_DEP_3) | instskip(SKIP_1) | instid1(VALU_DEP_4)
	v_add_co_u32 v10, s1, v17, v10
	s_wait_alu 0xf1ff
	v_add_co_ci_u32_e64 v11, s1, v22, v11, s1
	s_delay_alu instid0(VALU_DEP_4) | instskip(SKIP_4) | instid1(VALU_DEP_3)
	v_mov_b32_e32 v2, v13
	v_add_co_u32 v3, s1, v17, v3
	v_dual_mov_b32 v9, v14 :: v_dual_add_nc_u32 v16, 0x210, v120
	s_wait_alu 0xf1ff
	v_add_co_ci_u32_e64 v4, s1, v22, v4, s1
	v_mad_co_u64_u32 v[13:14], null, s9, v7, v[2:3]
	s_delay_alu instid0(VALU_DEP_3)
	v_mad_co_u64_u32 v[14:15], null, s8, v16, 0
	s_clause 0x3
	global_load_b128 v[66:69], v[0:1], off
	global_load_b128 v[62:65], v[5:6], off
	global_load_b128 v[58:61], v[10:11], off
	global_load_b128 v[54:57], v[3:4], off
	v_add_nc_u32_e32 v10, 0x252, v120
	v_lshlrev_b64_e32 v[0:1], 4, v[8:9]
	v_lshlrev_b64_e32 v[5:6], 4, v[12:13]
	v_add_nc_u32_e32 v12, 0x294, v120
	s_delay_alu instid0(VALU_DEP_4) | instskip(SKIP_4) | instid1(VALU_DEP_3)
	v_mad_co_u64_u32 v[3:4], null, s8, v10, 0
	v_mov_b32_e32 v2, v15
	v_add_co_u32 v0, s1, v17, v0
	s_wait_alu 0xf1ff
	v_add_co_ci_u32_e64 v1, s1, v22, v1, s1
	v_mad_co_u64_u32 v[7:8], null, s9, v16, v[2:3]
	v_mov_b32_e32 v2, v4
	v_add_co_u32 v4, s1, v17, v5
	v_mad_co_u64_u32 v[8:9], null, s8, v12, 0
	s_wait_alu 0xf1ff
	v_add_co_ci_u32_e64 v5, s1, v22, v6, s1
	v_mov_b32_e32 v15, v7
	v_mad_co_u64_u32 v[6:7], null, s9, v10, v[2:3]
	v_add_nc_u32_e32 v16, 0x2d6, v120
	v_mov_b32_e32 v2, v9
	s_clause 0x1
	global_load_b128 v[70:73], v[0:1], off
	global_load_b128 v[50:53], v[4:5], off
	v_lshlrev_b64_e32 v[0:1], 4, v[14:15]
	v_add_nc_u32_e32 v14, 0x35a, v120
	v_mad_co_u64_u32 v[10:11], null, s8, v16, 0
	v_mov_b32_e32 v4, v6
	v_mad_co_u64_u32 v[12:13], null, s9, v12, v[2:3]
	v_add_co_u32 v0, s1, v17, v0
	s_delay_alu instid0(VALU_DEP_3) | instskip(SKIP_4) | instid1(VALU_DEP_3)
	v_lshlrev_b64_e32 v[3:4], 4, v[3:4]
	v_mov_b32_e32 v2, v11
	s_wait_alu 0xf1ff
	v_add_co_ci_u32_e64 v1, s1, v22, v1, s1
	v_dual_mov_b32 v9, v12 :: v_dual_add_nc_u32 v12, 0x318, v120
	v_mad_co_u64_u32 v[5:6], null, s9, v16, v[2:3]
	v_add_co_u32 v2, s1, v17, v3
	s_delay_alu instid0(VALU_DEP_3) | instskip(NEXT) | instid1(VALU_DEP_4)
	v_lshlrev_b64_e32 v[6:7], 4, v[8:9]
	v_mad_co_u64_u32 v[8:9], null, s8, v12, 0
	s_wait_alu 0xf1ff
	v_add_co_ci_u32_e64 v3, s1, v22, v4, s1
	v_mov_b32_e32 v11, v5
	s_clause 0x1
	global_load_b128 v[38:41], v[0:1], off
	global_load_b128 v[30:33], v[2:3], off
	v_add_nc_u32_e32 v16, 0x39c, v120
	v_mov_b32_e32 v2, v9
	v_lshlrev_b64_e32 v[3:4], 4, v[10:11]
	v_add_co_u32 v0, s1, v17, v6
	s_wait_alu 0xf1ff
	v_add_co_ci_u32_e64 v1, s1, v22, v7, s1
	v_mad_co_u64_u32 v[10:11], null, s8, v16, 0
	s_delay_alu instid0(VALU_DEP_4) | instskip(SKIP_4) | instid1(VALU_DEP_4)
	v_mad_co_u64_u32 v[5:6], null, s9, v12, v[2:3]
	v_mad_co_u64_u32 v[6:7], null, s8, v14, 0
	v_add_co_u32 v2, s1, v17, v3
	s_wait_alu 0xf1ff
	v_add_co_ci_u32_e64 v3, s1, v22, v4, s1
	v_mov_b32_e32 v9, v5
	s_delay_alu instid0(VALU_DEP_4)
	v_dual_mov_b32 v5, v11 :: v_dual_mov_b32 v4, v7
	v_mad_co_u64_u32 v[12:13], null, s8, v23, 0
	s_clause 0x1
	global_load_b128 v[42:45], v[0:1], off
	global_load_b128 v[34:37], v[2:3], off
	v_lshlrev_b64_e32 v[1:2], 4, v[8:9]
	v_mad_co_u64_u32 v[14:15], null, s9, v14, v[4:5]
	v_mad_co_u64_u32 v[4:5], null, s9, v16, v[5:6]
	;; [unrolled: 1-line block ×3, first 2 shown]
	s_delay_alu instid0(VALU_DEP_3) | instskip(NEXT) | instid1(VALU_DEP_3)
	v_dual_mov_b32 v0, v13 :: v_dual_mov_b32 v7, v14
	v_mov_b32_e32 v11, v4
	s_delay_alu instid0(VALU_DEP_2) | instskip(NEXT) | instid1(VALU_DEP_4)
	v_mad_co_u64_u32 v[3:4], null, s9, v23, v[0:1]
	v_mov_b32_e32 v0, v16
	v_add_co_u32 v1, s1, v17, v1
	v_lshlrev_b64_e32 v[4:5], 4, v[6:7]
	s_wait_alu 0xf1ff
	v_add_co_ci_u32_e64 v2, s1, v22, v2, s1
	v_mov_b32_e32 v13, v3
	v_mad_co_u64_u32 v[6:7], null, s9, v24, v[0:1]
	v_lshlrev_b64_e32 v[7:8], 4, v[10:11]
	v_add_co_u32 v3, s1, v17, v4
	s_wait_alu 0xf1ff
	v_add_co_ci_u32_e64 v4, s1, v22, v5, s1
	v_lshlrev_b64_e32 v[9:10], 4, v[12:13]
	v_mov_b32_e32 v16, v6
	v_add_co_u32 v5, s1, v17, v7
	s_wait_alu 0xf1ff
	v_add_co_ci_u32_e64 v6, s1, v22, v8, s1
	s_delay_alu instid0(VALU_DEP_3) | instskip(SKIP_3) | instid1(VALU_DEP_3)
	v_lshlrev_b64_e32 v[7:8], 4, v[15:16]
	v_add_co_u32 v9, s1, v17, v9
	s_wait_alu 0xf1ff
	v_add_co_ci_u32_e64 v10, s1, v22, v10, s1
	v_add_co_u32 v7, s1, v17, v7
	s_wait_alu 0xf1ff
	v_add_co_ci_u32_e64 v8, s1, v22, v8, s1
	s_clause 0x4
	global_load_b128 v[26:29], v[1:2], off
	global_load_b128 v[22:25], v[3:4], off
	;; [unrolled: 1-line block ×5, first 2 shown]
.LBB0_11:
	s_wait_alu 0xfffe
	s_or_b32 exec_lo, exec_lo, s2
	s_wait_loadcnt 0x0
	v_add_f64_e32 v[100:101], v[6:7], v[46:47]
	s_mov_b32 s2, 0x6ed5f1bb
	s_mov_b32 s3, 0xbfe348c8
	v_add_f64_e64 v[118:119], v[48:49], -v[8:9]
	v_add_f64_e32 v[96:97], v[10:11], v[66:67]
	s_mov_b32 s20, 0x6c9a05f6
	s_mov_b32 s6, 0xc61f0d01
	s_mov_b32 s21, 0xbfe9895b
	s_mov_b32 s7, 0xbfd183b1
	v_add_f64_e64 v[116:117], v[68:69], -v[12:13]
	v_add_f64_e32 v[90:91], v[14:15], v[62:63]
	s_mov_b32 s24, 0x923c349f
	s_mov_b32 s12, 0x370991
	;; [unrolled: 6-line block ×5, first 2 shown]
	s_mov_b32 s35, 0x3fefdd0d
	s_mov_b32 s19, 0x3fe7a5f6
	v_add_f64_e64 v[98:99], v[72:73], -v[36:37]
	s_mov_b32 s36, 0x2a9d6da3
	s_mov_b32 s22, 0x7faef3
	;; [unrolled: 1-line block ×4, first 2 shown]
	s_wait_alu 0xfffe
	v_mul_f64_e32 v[110:111], s[2:3], v[100:101]
	v_add_f64_e64 v[88:89], v[52:53], -v[44:45]
	s_mov_b32 s38, 0xacd6c6b4
	s_mov_b32 s26, 0x2b2883cd
	v_mul_f64_e32 v[112:113], s[6:7], v[96:97]
	s_mov_b32 s39, 0xbfc7851a
	s_mov_b32 s27, 0x3fdc86fa
	v_add_f64_e64 v[84:85], v[40:41], -v[32:33]
	s_mov_b32 s40, 0x7c9e640b
	s_mov_b32 s41, 0x3feca52d
	v_mul_f64_e32 v[108:109], s[12:13], v[90:91]
	v_and_b32_e32 v121, 1, v121
	v_mul_f64_e32 v[102:103], s[14:15], v[82:83]
	s_delay_alu instid0(VALU_DEP_2) | instskip(SKIP_2) | instid1(VALU_DEP_2)
	v_cmp_eq_u32_e64 s1, 1, v121
	v_mul_f64_e32 v[92:93], s[16:17], v[80:81]
	s_wait_alu 0xf1ff
	v_cndmask_b32_e64 v121, 0, 0x462, s1
	v_mul_f64_e32 v[86:87], s[18:19], v[74:75]
	s_delay_alu instid0(VALU_DEP_2) | instskip(SKIP_4) | instid1(VALU_DEP_4)
	v_lshlrev_b32_e32 v121, 3, v121
	v_fma_f64 v[0:1], v[118:119], s[20:21], v[110:111]
	v_fma_f64 v[2:3], v[116:117], s[24:25], v[112:113]
	;; [unrolled: 1-line block ×4, first 2 shown]
	v_add_f64_e32 v[0:1], v[18:19], v[0:1]
	s_delay_alu instid0(VALU_DEP_1) | instskip(SKIP_1) | instid1(VALU_DEP_2)
	v_add_f64_e32 v[0:1], v[2:3], v[0:1]
	v_fma_f64 v[2:3], v[106:107], s[30:31], v[102:103]
	v_add_f64_e32 v[0:1], v[4:5], v[0:1]
	v_add_f64_e32 v[4:5], v[42:43], v[50:51]
	s_delay_alu instid0(VALU_DEP_2) | instskip(NEXT) | instid1(VALU_DEP_2)
	v_add_f64_e32 v[0:1], v[2:3], v[0:1]
	v_mul_f64_e32 v[78:79], s[22:23], v[4:5]
	v_fma_f64 v[2:3], v[98:99], s[36:37], v[86:87]
	s_delay_alu instid0(VALU_DEP_3) | instskip(SKIP_1) | instid1(VALU_DEP_4)
	v_add_f64_e32 v[76:77], v[76:77], v[0:1]
	v_add_f64_e32 v[0:1], v[30:31], v[38:39]
	v_fma_f64 v[122:123], v[88:89], s[38:39], v[78:79]
	s_delay_alu instid0(VALU_DEP_3) | instskip(SKIP_1) | instid1(VALU_DEP_3)
	v_add_f64_e32 v[2:3], v[2:3], v[76:77]
	s_wait_alu 0xfffe
	v_mul_f64_e32 v[76:77], s[26:27], v[0:1]
	s_delay_alu instid0(VALU_DEP_2) | instskip(NEXT) | instid1(VALU_DEP_2)
	v_add_f64_e32 v[2:3], v[122:123], v[2:3]
	v_fma_f64 v[122:123], v[84:85], s[40:41], v[76:77]
	s_delay_alu instid0(VALU_DEP_1)
	v_add_f64_e32 v[2:3], v[122:123], v[2:3]
	s_and_saveexec_b32 s1, s0
	s_cbranch_execz .LBB0_13
; %bb.12:
	v_add_f64_e32 v[122:123], v[46:47], v[18:19]
	v_mul_f64_e32 v[124:125], s[38:39], v[118:119]
	s_mov_b32 s43, 0xbfeec746
	s_mov_b32 s42, s24
	;; [unrolled: 1-line block ×4, first 2 shown]
	v_mul_f64_e32 v[128:129], s[30:31], v[118:119]
	v_mul_f64_e32 v[126:127], s[20:21], v[118:119]
	;; [unrolled: 1-line block ×6, first 2 shown]
	s_mov_b32 s53, 0xbfeca52d
	s_mov_b32 s52, s40
	;; [unrolled: 1-line block ×3, first 2 shown]
	v_mul_f64_e32 v[118:119], s[52:53], v[118:119]
	s_mov_b32 s46, s28
	s_mov_b32 s57, 0x3fe0d888
	v_mul_f64_e32 v[160:161], s[46:47], v[116:117]
	s_mov_b32 s56, s30
	v_mul_f64_e32 v[142:143], s[24:25], v[116:117]
	v_mul_f64_e32 v[150:151], s[40:41], v[116:117]
	;; [unrolled: 1-line block ×7, first 2 shown]
	s_mov_b32 s45, 0x3fe58eea
	s_mov_b32 s44, s36
	;; [unrolled: 1-line block ×4, first 2 shown]
	v_mul_f64_e32 v[144:145], s[28:29], v[114:115]
	v_mul_f64_e32 v[146:147], s[30:31], v[114:115]
	;; [unrolled: 1-line block ×7, first 2 shown]
	v_add_f64_e32 v[122:123], v[66:67], v[122:123]
	v_fma_f64 v[162:163], v[100:101], s[22:23], v[124:125]
	v_fma_f64 v[124:125], v[100:101], s[22:23], -v[124:125]
	v_mul_f64_e32 v[114:115], s[52:53], v[114:115]
	s_mov_b32 s51, 0x3fe9895b
	s_mov_b32 s50, s20
	v_fma_f64 v[166:167], v[100:101], s[14:15], v[128:129]
	v_fma_f64 v[128:129], v[100:101], s[14:15], -v[128:129]
	v_add_f64_e64 v[110:111], v[110:111], -v[126:127]
	v_fma_f64 v[126:127], v[100:101], s[18:19], v[130:131]
	v_fma_f64 v[130:131], v[100:101], s[18:19], -v[130:131]
	v_fma_f64 v[168:169], v[100:101], s[12:13], -v[132:133]
	;; [unrolled: 1-line block ×4, first 2 shown]
	v_fma_f64 v[134:135], v[100:101], s[6:7], v[134:135]
	v_fma_f64 v[136:137], v[100:101], s[16:17], v[136:137]
	;; [unrolled: 1-line block ×3, first 2 shown]
	v_fma_f64 v[118:119], v[100:101], s[26:27], -v[118:119]
	v_fma_f64 v[100:101], v[100:101], s[12:13], v[132:133]
	v_fma_f64 v[192:193], v[96:97], s[12:13], v[160:161]
	v_fma_f64 v[160:161], v[96:97], s[12:13], -v[160:161]
	v_add_f64_e64 v[112:113], v[112:113], -v[142:143]
	v_fma_f64 v[142:143], v[96:97], s[26:27], v[150:151]
	v_fma_f64 v[150:151], v[96:97], s[26:27], -v[150:151]
	v_fma_f64 v[186:187], v[96:97], s[18:19], v[154:155]
	v_fma_f64 v[188:189], v[96:97], s[22:23], v[156:157]
	v_fma_f64 v[156:157], v[96:97], s[22:23], -v[156:157]
	v_fma_f64 v[190:191], v[96:97], s[2:3], v[158:159]
	v_fma_f64 v[158:159], v[96:97], s[2:3], -v[158:159]
	v_fma_f64 v[154:155], v[96:97], s[18:19], -v[154:155]
	v_fma_f64 v[194:195], v[96:97], s[16:17], v[164:165]
	v_fma_f64 v[164:165], v[96:97], s[16:17], -v[164:165]
	v_fma_f64 v[196:197], v[96:97], s[14:15], v[116:117]
	v_fma_f64 v[96:97], v[96:97], s[14:15], -v[116:117]
	v_mul_f64_e32 v[140:141], s[30:31], v[106:107]
	v_mul_f64_e32 v[132:133], s[38:39], v[106:107]
	;; [unrolled: 1-line block ×4, first 2 shown]
	v_add_f64_e32 v[122:123], v[62:63], v[122:123]
	v_add_f64_e32 v[162:163], v[18:19], v[162:163]
	;; [unrolled: 1-line block ×3, first 2 shown]
	v_add_f64_e64 v[108:109], v[108:109], -v[144:145]
	v_fma_f64 v[144:145], v[90:91], s[14:15], v[146:147]
	v_fma_f64 v[146:147], v[90:91], s[14:15], -v[146:147]
	v_add_f64_e32 v[166:167], v[18:19], v[166:167]
	v_add_f64_e32 v[116:117], v[18:19], v[128:129]
	;; [unrolled: 1-line block ×13, first 2 shown]
	v_mul_f64_e32 v[100:101], s[50:51], v[106:107]
	v_mul_f64_e32 v[174:175], s[52:53], v[106:107]
	v_fma_f64 v[198:199], v[90:91], s[6:7], v[148:149]
	v_fma_f64 v[148:149], v[90:91], s[6:7], -v[148:149]
	v_fma_f64 v[200:201], v[90:91], s[2:3], v[152:153]
	v_fma_f64 v[152:153], v[90:91], s[2:3], -v[152:153]
	;; [unrolled: 2-line block ×6, first 2 shown]
	v_mul_f64_e32 v[114:115], s[46:47], v[106:107]
	v_mul_f64_e32 v[106:107], s[48:49], v[106:107]
	v_add_f64_e64 v[102:103], v[102:103], -v[140:141]
	v_fma_f64 v[140:141], v[82:83], s[22:23], v[132:133]
	v_fma_f64 v[132:133], v[82:83], s[22:23], -v[132:133]
	v_add_f64_e32 v[122:123], v[58:59], v[122:123]
	v_add_f64_e32 v[162:163], v[192:193], v[162:163]
	;; [unrolled: 1-line block ×3, first 2 shown]
	v_mul_f64_e32 v[160:161], s[36:37], v[98:99]
	v_mul_f64_e32 v[192:193], s[38:39], v[88:89]
	;; [unrolled: 1-line block ×3, first 2 shown]
	v_add_f64_e32 v[142:143], v[142:143], v[166:167]
	v_add_f64_e32 v[116:117], v[150:151], v[116:117]
	v_add_f64_e32 v[110:111], v[112:113], v[110:111]
	v_add_f64_e32 v[112:113], v[194:195], v[126:127]
	v_add_f64_e32 v[126:127], v[164:165], v[128:129]
	v_add_f64_e32 v[128:129], v[154:155], v[130:131]
	v_add_f64_e32 v[96:97], v[96:97], v[168:169]
	v_add_f64_e32 v[130:131], v[156:157], v[170:171]
	v_add_f64_e32 v[134:135], v[196:197], v[134:135]
	v_add_f64_e32 v[136:137], v[188:189], v[136:137]
	v_add_f64_e32 v[150:151], v[190:191], v[172:173]
	v_add_f64_e32 v[118:119], v[158:159], v[118:119]
	v_add_f64_e32 v[18:19], v[186:187], v[18:19]
	v_mul_f64_e32 v[166:167], s[34:35], v[104:105]
	v_mul_f64_e32 v[154:155], s[20:21], v[104:105]
	;; [unrolled: 1-line block ×8, first 2 shown]
	v_fma_f64 v[172:173], v[82:83], s[6:7], v[176:177]
	v_fma_f64 v[176:177], v[82:83], s[6:7], -v[176:177]
	v_fma_f64 v[186:187], v[82:83], s[18:19], v[184:185]
	v_fma_f64 v[184:185], v[82:83], s[18:19], -v[184:185]
	v_fma_f64 v[188:189], v[82:83], s[2:3], v[100:101]
	v_fma_f64 v[100:101], v[82:83], s[2:3], -v[100:101]
	v_fma_f64 v[190:191], v[82:83], s[26:27], v[174:175]
	v_fma_f64 v[174:175], v[82:83], s[26:27], -v[174:175]
	v_fma_f64 v[194:195], v[82:83], s[12:13], v[114:115]
	v_fma_f64 v[114:115], v[82:83], s[12:13], -v[114:115]
	v_fma_f64 v[196:197], v[82:83], s[16:17], v[106:107]
	v_add_f64_e32 v[122:123], v[54:55], v[122:123]
	v_fma_f64 v[82:83], v[82:83], s[16:17], -v[106:107]
	v_add_f64_e32 v[106:107], v[144:145], v[162:163]
	v_add_f64_e32 v[124:125], v[146:147], v[124:125]
	v_mul_f64_e32 v[144:145], s[38:39], v[98:99]
	v_mul_f64_e32 v[146:147], s[34:35], v[98:99]
	v_add_f64_e32 v[142:143], v[202:203], v[142:143]
	v_add_f64_e32 v[116:117], v[178:179], v[116:117]
	;; [unrolled: 1-line block ×13, first 2 shown]
	v_mul_f64_e32 v[136:137], s[40:41], v[98:99]
	v_mul_f64_e32 v[148:149], s[30:31], v[98:99]
	v_mul_f64_e32 v[150:151], s[28:29], v[98:99]
	v_mul_f64_e32 v[152:153], s[24:25], v[98:99]
	v_mul_f64_e32 v[98:99], s[20:21], v[98:99]
	v_add_f64_e64 v[92:93], v[92:93], -v[166:167]
	v_fma_f64 v[162:163], v[80:81], s[2:3], v[154:155]
	v_fma_f64 v[154:155], v[80:81], s[2:3], -v[154:155]
	v_fma_f64 v[166:167], v[80:81], s[12:13], v[156:157]
	v_fma_f64 v[156:157], v[80:81], s[12:13], -v[156:157]
	;; [unrolled: 2-line block ×6, first 2 shown]
	v_fma_f64 v[200:201], v[80:81], s[6:7], -v[104:105]
	v_add_f64_e32 v[122:123], v[70:71], v[122:123]
	v_fma_f64 v[80:81], v[80:81], s[6:7], v[104:105]
	v_add_f64_e32 v[104:105], v[186:187], v[106:107]
	v_add_f64_e32 v[106:107], v[184:185], v[124:125]
	v_add_f64_e64 v[86:87], v[86:87], -v[160:161]
	v_fma_f64 v[160:161], v[74:75], s[22:23], v[144:145]
	v_add_f64_e32 v[124:125], v[188:189], v[142:143]
	v_add_f64_e32 v[100:101], v[100:101], v[116:117]
	;; [unrolled: 1-line block ×13, first 2 shown]
	v_mul_f64_e32 v[126:127], s[28:29], v[88:89]
	v_mul_f64_e32 v[128:129], s[40:41], v[88:89]
	;; [unrolled: 1-line block ×7, first 2 shown]
	v_fma_f64 v[142:143], v[74:75], s[26:27], v[136:137]
	v_fma_f64 v[136:137], v[74:75], s[26:27], -v[136:137]
	v_fma_f64 v[144:145], v[74:75], s[22:23], -v[144:145]
	v_fma_f64 v[172:173], v[74:75], s[16:17], v[146:147]
	v_fma_f64 v[146:147], v[74:75], s[16:17], -v[146:147]
	v_fma_f64 v[174:175], v[74:75], s[14:15], v[148:149]
	;; [unrolled: 2-line block ×5, first 2 shown]
	v_add_f64_e32 v[122:123], v[50:51], v[122:123]
	v_fma_f64 v[74:75], v[74:75], s[2:3], -v[98:99]
	v_add_f64_e32 v[98:99], v[162:163], v[104:105]
	v_add_f64_e32 v[104:105], v[154:155], v[106:107]
	v_mul_f64_e32 v[154:155], s[38:39], v[84:85]
	v_add_f64_e64 v[78:79], v[78:79], -v[192:193]
	v_add_f64_e32 v[106:107], v[166:167], v[124:125]
	v_add_f64_e32 v[100:101], v[156:157], v[100:101]
	;; [unrolled: 1-line block ×13, first 2 shown]
	v_mul_f64_e32 v[80:81], s[34:35], v[84:85]
	v_mul_f64_e32 v[124:125], s[30:31], v[84:85]
	;; [unrolled: 1-line block ×4, first 2 shown]
	v_fma_f64 v[162:163], v[4:5], s[12:13], v[126:127]
	v_fma_f64 v[126:127], v[4:5], s[12:13], -v[126:127]
	v_fma_f64 v[164:165], v[4:5], s[26:27], v[128:129]
	v_fma_f64 v[128:129], v[4:5], s[26:27], -v[128:129]
	;; [unrolled: 2-line block ×7, first 2 shown]
	v_add_f64_e64 v[76:77], v[76:77], -v[138:139]
	v_add_f64_e32 v[122:123], v[38:39], v[122:123]
	v_add_f64_e32 v[88:89], v[142:143], v[98:99]
	;; [unrolled: 1-line block ×3, first 2 shown]
	v_fma_f64 v[136:137], v[0:1], s[22:23], v[154:155]
	v_fma_f64 v[138:139], v[0:1], s[22:23], -v[154:155]
	v_add_f64_e32 v[104:105], v[160:161], v[106:107]
	v_add_f64_e32 v[100:101], v[144:145], v[100:101]
	;; [unrolled: 1-line block ×13, first 2 shown]
	v_fma_f64 v[114:115], v[0:1], s[16:17], v[80:81]
	v_fma_f64 v[80:81], v[0:1], s[16:17], -v[80:81]
	v_fma_f64 v[142:143], v[0:1], s[6:7], v[156:157]
	v_fma_f64 v[144:145], v[0:1], s[6:7], -v[156:157]
	v_fma_f64 v[146:147], v[0:1], s[18:19], v[158:159]
	v_fma_f64 v[148:149], v[0:1], s[18:19], -v[158:159]
	v_add_f64_e32 v[122:123], v[30:31], v[122:123]
	v_add_f64_e32 v[100:101], v[134:135], v[100:101]
	;; [unrolled: 1-line block ×15, first 2 shown]
	s_delay_alu instid0(VALU_DEP_4) | instskip(NEXT) | instid1(VALU_DEP_4)
	v_add_f64_e32 v[18:19], v[136:137], v[18:19]
	v_add_f64_e32 v[122:123], v[34:35], v[122:123]
	s_delay_alu instid0(VALU_DEP_1) | instskip(NEXT) | instid1(VALU_DEP_1)
	v_add_f64_e32 v[122:123], v[26:27], v[122:123]
	v_add_f64_e32 v[116:117], v[22:23], v[122:123]
	v_mul_f64_e32 v[122:123], s[20:21], v[84:85]
	v_mul_f64_e32 v[84:85], s[46:47], v[84:85]
	s_delay_alu instid0(VALU_DEP_3) | instskip(NEXT) | instid1(VALU_DEP_3)
	v_add_f64_e32 v[110:111], v[14:15], v[116:117]
	v_fma_f64 v[116:117], v[0:1], s[2:3], v[122:123]
	v_fma_f64 v[118:119], v[0:1], s[2:3], -v[122:123]
	v_fma_f64 v[122:123], v[0:1], s[14:15], v[124:125]
	v_fma_f64 v[124:125], v[0:1], s[14:15], -v[124:125]
	;; [unrolled: 2-line block ×3, first 2 shown]
	v_add_f64_e32 v[84:85], v[168:169], v[88:89]
	v_add_f64_e32 v[88:89], v[132:133], v[98:99]
	;; [unrolled: 1-line block ×17, first 2 shown]
	v_mul_u32_u24_e32 v102, 0x88, v120
	s_delay_alu instid0(VALU_DEP_1)
	v_add3_u32 v102, 0, v102, v121
	v_add_f64_e32 v[100:101], v[6:7], v[106:107]
	ds_store_2addr_b64 v102, v[80:81], v[84:85] offset0:8 offset1:9
	ds_store_2addr_b64 v102, v[88:89], v[2:3] offset0:10 offset1:11
	;; [unrolled: 1-line block ×6, first 2 shown]
	ds_store_2addr_b64 v102, v[100:101], v[74:75] offset1:1
	ds_store_2addr_b64 v102, v[0:1], v[4:5] offset0:2 offset1:3
	ds_store_b64 v102, v[18:19] offset:128
.LBB0_13:
	s_wait_alu 0xfffe
	s_or_b32 exec_lo, exec_lo, s1
	v_add_f64_e64 v[118:119], v[46:47], -v[6:7]
	v_add_f64_e32 v[108:109], v[8:9], v[48:49]
	v_add_f64_e64 v[116:117], v[66:67], -v[10:11]
	v_add_f64_e32 v[106:107], v[12:13], v[68:69]
	;; [unrolled: 2-line block ×7, first 2 shown]
	v_add_f64_e64 v[22:23], v[38:39], -v[30:31]
	v_lshlrev_b32_e32 v30, 3, v120
	global_wb scope:SCOPE_SE
	s_wait_dscnt 0x0
	s_barrier_signal -1
	s_barrier_wait -1
	global_inv scope:SCOPE_SE
	v_add_nc_u32_e32 v124, 0, v30
	v_add3_u32 v71, 0, v121, v30
	s_delay_alu instid0(VALU_DEP_2) | instskip(NEXT) | instid1(VALU_DEP_1)
	v_add_nc_u32_e32 v70, v124, v121
	v_add_nc_u32_e32 v123, 0x800, v70
	;; [unrolled: 1-line block ×5, first 2 shown]
	v_mul_f64_e32 v[114:115], s[20:21], v[118:119]
	v_mul_f64_e32 v[110:111], s[24:25], v[116:117]
	;; [unrolled: 1-line block ×8, first 2 shown]
	v_fma_f64 v[0:1], v[108:109], s[2:3], -v[114:115]
	v_fma_f64 v[4:5], v[106:107], s[6:7], -v[110:111]
	;; [unrolled: 1-line block ×4, first 2 shown]
	s_delay_alu instid0(VALU_DEP_4) | instskip(NEXT) | instid1(VALU_DEP_1)
	v_add_f64_e32 v[0:1], v[20:21], v[0:1]
	v_add_f64_e32 v[0:1], v[4:5], v[0:1]
	v_fma_f64 v[4:5], v[66:67], s[14:15], -v[96:97]
	s_delay_alu instid0(VALU_DEP_2) | instskip(SKIP_1) | instid1(VALU_DEP_2)
	v_add_f64_e32 v[0:1], v[6:7], v[0:1]
	v_fma_f64 v[6:7], v[54:55], s[16:17], -v[58:59]
	v_add_f64_e32 v[0:1], v[4:5], v[0:1]
	v_add_f64_e32 v[4:5], v[32:33], v[40:41]
	s_delay_alu instid0(VALU_DEP_2) | instskip(SKIP_1) | instid1(VALU_DEP_2)
	v_add_f64_e32 v[0:1], v[6:7], v[0:1]
	v_fma_f64 v[6:7], v[14:15], s[22:23], -v[18:19]
	v_add_f64_e32 v[0:1], v[26:27], v[0:1]
	s_delay_alu instid0(VALU_DEP_4) | instskip(NEXT) | instid1(VALU_DEP_2)
	v_fma_f64 v[26:27], v[4:5], s[26:27], -v[10:11]
	v_add_f64_e32 v[0:1], v[6:7], v[0:1]
	s_delay_alu instid0(VALU_DEP_1)
	v_add_f64_e32 v[6:7], v[26:27], v[0:1]
	ds_load_b64 v[0:1], v71
	ds_load_2addr_b64 v[90:93], v70 offset0:102 offset1:204
	ds_load_2addr_b64 v[86:89], v123 offset0:50 offset1:152
	;; [unrolled: 1-line block ×5, first 2 shown]
	global_wb scope:SCOPE_SE
	s_wait_dscnt 0x0
	s_barrier_signal -1
	s_barrier_wait -1
	global_inv scope:SCOPE_SE
	s_and_saveexec_b32 s33, s0
	s_cbranch_execz .LBB0_15
; %bb.14:
	v_add_f64_e32 v[26:27], v[48:49], v[20:21]
	v_mul_f64_e32 v[30:31], s[22:23], v[14:15]
	s_mov_b32 s36, 0xeb564b22
	s_mov_b32 s22, 0x923c349f
	v_mul_f64_e32 v[48:49], s[16:17], v[54:55]
	s_mov_b32 s17, 0xbfe58eea
	s_mov_b32 s16, 0x2a9d6da3
	s_mov_b32 s37, 0xbfefdd0d
	s_mov_b32 s23, 0xbfeec746
	s_mov_b32 s28, 0x4363dd80
	s_mov_b32 s29, 0xbfe0d888
	s_mov_b32 s34, 0xacd6c6b4
	s_wait_alu 0xfffe
	v_mul_f64_e32 v[127:128], s[16:17], v[118:119]
	s_mov_b32 s35, 0xbfc7851a
	v_mul_f64_e32 v[129:130], s[36:37], v[118:119]
	v_mul_f64_e32 v[131:132], s[22:23], v[118:119]
	;; [unrolled: 1-line block ×3, first 2 shown]
	s_mov_b32 s42, 0x7c9e640b
	s_wait_alu 0xfffe
	v_mul_f64_e32 v[135:136], s[34:35], v[118:119]
	s_mov_b32 s43, 0xbfeca52d
	v_mul_f64_e32 v[125:126], s[14:15], v[66:67]
	s_mov_b32 s0, 0x370991
	s_mov_b32 s14, 0xc61f0d01
	;; [unrolled: 1-line block ×3, first 2 shown]
	v_mul_f64_e32 v[38:39], s[18:19], v[34:35]
	s_mov_b32 s1, 0x3fedd6d0
	s_mov_b32 s15, 0xbfd183b1
	;; [unrolled: 1-line block ×12, first 2 shown]
	v_mul_f64_e32 v[137:138], s[36:37], v[116:117]
	v_add_f64_e32 v[26:27], v[68:69], v[26:27]
	s_wait_alu 0xfffe
	v_mul_f64_e32 v[139:140], s[30:31], v[116:117]
	v_mul_f64_e32 v[141:142], s[34:35], v[116:117]
	;; [unrolled: 1-line block ×5, first 2 shown]
	s_mov_b32 s12, 0x2b2883cd
	s_mov_b32 s13, 0x3fdc86fa
	;; [unrolled: 1-line block ×8, first 2 shown]
	v_mul_f64_e32 v[143:144], s[42:43], v[112:113]
	v_fma_f64 v[155:156], v[108:109], s[14:15], v[131:132]
	v_fma_f64 v[157:158], v[108:109], s[18:19], v[133:134]
	v_fma_f64 v[133:134], v[108:109], s[18:19], -v[133:134]
	v_fma_f64 v[159:160], v[108:109], s[20:21], v[135:136]
	v_fma_f64 v[135:136], v[108:109], s[20:21], -v[135:136]
	v_fma_f64 v[131:132], v[108:109], s[14:15], -v[131:132]
	v_mul_f64_e32 v[145:146], s[30:31], v[112:113]
	s_wait_alu 0xfffe
	v_mul_f64_e32 v[167:168], s[52:53], v[112:113]
	v_mul_f64_e32 v[169:170], s[48:49], v[112:113]
	s_mov_b32 s47, 0x3fe9895b
	s_mov_b32 s46, s30
	v_mul_f64_e32 v[163:164], s[36:37], v[104:105]
	v_mul_f64_e32 v[165:166], s[34:35], v[104:105]
	s_wait_alu 0xfffe
	v_mul_f64_e32 v[185:186], s[46:47], v[104:105]
	v_add_f64_e32 v[96:97], v[125:126], v[96:97]
	s_mov_b32 s45, 0x3fefdd0d
	s_mov_b32 s44, s36
	v_add_f64_e32 v[48:49], v[48:49], v[58:59]
	v_add_f64_e32 v[38:39], v[38:39], v[42:43]
	;; [unrolled: 1-line block ×4, first 2 shown]
	v_mul_f64_e32 v[64:65], s[6:7], v[106:107]
	s_mov_b32 s6, 0x3259b75e
	s_mov_b32 s7, 0x3fb79ee6
	v_fma_f64 v[173:174], v[106:107], s[24:25], v[139:140]
	s_wait_alu 0xfffe
	v_fma_f64 v[153:154], v[108:109], s[6:7], v[129:130]
	v_fma_f64 v[129:130], v[108:109], s[6:7], -v[129:130]
	v_fma_f64 v[171:172], v[106:107], s[6:7], v[137:138]
	v_fma_f64 v[137:138], v[106:107], s[6:7], -v[137:138]
	v_fma_f64 v[139:140], v[106:107], s[24:25], -v[139:140]
	v_fma_f64 v[175:176], v[106:107], s[20:21], v[141:142]
	v_fma_f64 v[141:142], v[106:107], s[20:21], -v[141:142]
	v_fma_f64 v[177:178], v[106:107], s[18:19], v[147:148]
	;; [unrolled: 2-line block ×3, first 2 shown]
	v_fma_f64 v[149:150], v[106:107], s[12:13], -v[149:150]
	v_add_f64_e32 v[68:69], v[68:69], v[102:103]
	v_add_f64_e32 v[133:134], v[20:21], v[133:134]
	v_fma_f64 v[102:103], v[100:101], s[12:13], v[143:144]
	v_add_f64_e32 v[135:136], v[20:21], v[135:136]
	v_add_f64_e32 v[131:132], v[20:21], v[131:132]
	v_fma_f64 v[143:144], v[100:101], s[12:13], -v[143:144]
	v_fma_f64 v[187:188], v[100:101], s[24:25], v[145:146]
	v_fma_f64 v[145:146], v[100:101], s[24:25], -v[145:146]
	v_fma_f64 v[193:194], v[100:101], s[20:21], v[167:168]
	;; [unrolled: 2-line block ×4, first 2 shown]
	v_add_f64_e32 v[26:27], v[60:61], v[26:27]
	v_mul_f64_e32 v[60:61], s[2:3], v[108:109]
	s_mov_b32 s2, 0x75d4884
	s_mov_b32 s3, 0x3fe7a5f6
	v_add_f64_e32 v[64:65], v[64:65], v[110:111]
	s_wait_alu 0xfffe
	v_fma_f64 v[151:152], v[108:109], s[2:3], v[127:128]
	v_fma_f64 v[127:128], v[108:109], s[2:3], -v[127:128]
	v_add_f64_e32 v[129:130], v[20:21], v[129:130]
	v_add_f64_e32 v[133:134], v[149:150], v[133:134]
	v_mul_f64_e32 v[149:150], s[50:51], v[98:99]
	v_add_f64_e32 v[131:132], v[147:148], v[131:132]
	v_mul_f64_e32 v[147:148], s[30:31], v[62:63]
	;; [unrolled: 2-line block ×3, first 2 shown]
	s_mov_b32 s26, 0x5d8e7cdc
	s_mov_b32 s27, 0xbfd71e95
	s_wait_alu 0xfffe
	s_mov_b32 s38, s26
	v_add_f64_e32 v[60:61], v[60:61], v[114:115]
	v_add_f64_e32 v[127:128], v[20:21], v[127:128]
	s_wait_alu 0xfffe
	v_mul_f64_e32 v[183:184], s[38:39], v[104:105]
	v_fma_f64 v[42:43], v[34:35], s[24:25], v[147:148]
	v_fma_f64 v[147:148], v[34:35], s[24:25], -v[147:148]
	v_add_f64_e32 v[56:57], v[72:73], v[56:57]
	v_mul_f64_e32 v[72:73], s[26:27], v[118:119]
	v_mul_f64_e32 v[118:119], s[42:43], v[118:119]
	v_add_f64_e32 v[10:11], v[26:27], v[10:11]
	v_add_f64_e32 v[60:61], v[20:21], v[60:61]
	;; [unrolled: 1-line block ×3, first 2 shown]
	v_mul_f64_e32 v[56:57], s[16:17], v[116:117]
	v_mul_f64_e32 v[116:117], s[38:39], v[116:117]
	v_fma_f64 v[114:115], v[108:109], s[0:1], v[72:73]
	v_fma_f64 v[161:162], v[108:109], s[12:13], -v[118:119]
	v_fma_f64 v[118:119], v[108:109], s[12:13], v[118:119]
	s_mov_b32 s17, 0x3fe58eea
	v_add_f64_e32 v[60:61], v[64:65], v[60:61]
	v_add_f64_e32 v[40:41], v[40:41], v[52:53]
	v_fma_f64 v[52:53], v[108:109], s[0:1], -v[72:73]
	v_mul_f64_e32 v[72:73], s[36:37], v[112:113]
	v_mul_f64_e32 v[108:109], s[28:29], v[112:113]
	s_wait_alu 0xfffe
	v_mul_f64_e32 v[112:113], s[16:17], v[112:113]
	v_fma_f64 v[110:111], v[106:107], s[2:3], v[56:57]
	v_fma_f64 v[56:57], v[106:107], s[2:3], -v[56:57]
	v_fma_f64 v[181:182], v[106:107], s[0:1], v[116:117]
	v_fma_f64 v[106:107], v[106:107], s[0:1], -v[116:117]
	v_add_f64_e32 v[114:115], v[20:21], v[114:115]
	v_add_f64_e32 v[116:117], v[20:21], v[151:152]
	v_add_f64_e32 v[151:152], v[20:21], v[153:154]
	v_add_f64_e32 v[153:154], v[20:21], v[155:156]
	v_add_f64_e32 v[155:156], v[20:21], v[157:158]
	v_add_f64_e32 v[157:158], v[20:21], v[159:160]
	v_add_f64_e32 v[159:160], v[20:21], v[161:162]
	v_add_f64_e32 v[118:119], v[20:21], v[118:119]
	v_mul_f64_e32 v[161:162], s[48:49], v[104:105]
	v_add_f64_e32 v[60:61], v[68:69], v[60:61]
	v_add_f64_e32 v[32:33], v[32:33], v[40:41]
	;; [unrolled: 1-line block ×3, first 2 shown]
	v_mul_f64_e32 v[40:41], s[42:43], v[104:105]
	v_mul_f64_e32 v[104:105], s[16:17], v[104:105]
	v_fma_f64 v[189:190], v[100:101], s[6:7], v[72:73]
	v_fma_f64 v[72:73], v[100:101], s[6:7], -v[72:73]
	v_fma_f64 v[191:192], v[100:101], s[18:19], v[108:109]
	v_fma_f64 v[108:109], v[100:101], s[18:19], -v[108:109]
	;; [unrolled: 2-line block ×3, first 2 shown]
	v_add_f64_e32 v[64:65], v[110:111], v[114:115]
	v_add_f64_e32 v[110:111], v[171:172], v[116:117]
	;; [unrolled: 1-line block ×11, first 2 shown]
	v_mul_f64_e32 v[52:53], s[22:23], v[98:99]
	v_mul_f64_e32 v[139:140], s[26:27], v[98:99]
	;; [unrolled: 1-line block ×3, first 2 shown]
	v_fma_f64 v[151:152], v[66:67], s[6:7], -v[163:164]
	v_fma_f64 v[153:154], v[66:67], s[20:21], v[165:166]
	v_fma_f64 v[155:156], v[66:67], s[20:21], -v[165:166]
	v_fma_f64 v[159:160], v[66:67], s[14:15], v[161:162]
	;; [unrolled: 2-line block ×4, first 2 shown]
	v_fma_f64 v[173:174], v[66:67], s[24:25], -v[185:186]
	v_add_f64_e32 v[60:61], v[96:97], v[60:61]
	v_add_f64_e32 v[32:33], v[44:45], v[32:33]
	;; [unrolled: 1-line block ×3, first 2 shown]
	v_mul_f64_e32 v[44:45], s[42:43], v[98:99]
	v_mul_f64_e32 v[56:57], s[34:35], v[98:99]
	v_mul_f64_e32 v[98:99], s[16:17], v[98:99]
	v_fma_f64 v[157:158], v[66:67], s[12:13], v[40:41]
	v_fma_f64 v[40:41], v[66:67], s[12:13], -v[40:41]
	v_fma_f64 v[175:176], v[66:67], s[2:3], v[104:105]
	v_fma_f64 v[66:67], v[66:67], s[2:3], -v[104:105]
	v_add_f64_e32 v[72:73], v[72:73], v[133:134]
	v_add_f64_e32 v[64:65], v[102:103], v[64:65]
	;; [unrolled: 1-line block ×13, first 2 shown]
	v_mul_f64_e32 v[127:128], s[28:29], v[62:63]
	v_mul_f64_e32 v[131:132], s[48:49], v[62:63]
	v_mul_f64_e32 v[133:134], s[44:45], v[62:63]
	v_fma_f64 v[58:59], v[54:55], s[14:15], v[52:53]
	v_fma_f64 v[52:53], v[54:55], s[14:15], -v[52:53]
	v_fma_f64 v[145:146], v[54:55], s[24:25], v[141:142]
	v_fma_f64 v[141:142], v[54:55], s[24:25], -v[141:142]
	;; [unrolled: 2-line block ×3, first 2 shown]
	v_mul_f64_e32 v[129:130], s[34:35], v[62:63]
	v_add_f64_e32 v[48:49], v[48:49], v[60:61]
	v_add_f64_e32 v[32:33], v[36:37], v[32:33]
	;; [unrolled: 1-line block ×3, first 2 shown]
	v_fma_f64 v[135:136], v[54:55], s[12:13], v[44:45]
	v_fma_f64 v[44:45], v[54:55], s[12:13], -v[44:45]
	v_fma_f64 v[137:138], v[54:55], s[20:21], v[56:57]
	v_fma_f64 v[56:57], v[54:55], s[20:21], -v[56:57]
	;; [unrolled: 2-line block ×4, first 2 shown]
	v_add_f64_e32 v[64:65], v[125:126], v[64:65]
	v_add_f64_e32 v[68:69], v[153:154], v[68:69]
	v_mul_f64_e32 v[36:37], s[26:27], v[62:63]
	v_add_f64_e32 v[98:99], v[163:164], v[104:105]
	v_add_f64_e32 v[104:105], v[157:158], v[112:113]
	v_mul_f64_e32 v[62:63], s[40:41], v[62:63]
	v_add_f64_e32 v[96:97], v[155:156], v[102:103]
	v_add_f64_e32 v[102:103], v[165:166], v[110:111]
	;; [unrolled: 1-line block ×9, first 2 shown]
	v_mul_f64_e32 v[108:109], s[36:37], v[46:47]
	v_mul_f64_e32 v[114:115], s[26:27], v[46:47]
	;; [unrolled: 1-line block ×5, first 2 shown]
	v_fma_f64 v[153:154], v[34:35], s[18:19], v[127:128]
	v_fma_f64 v[157:158], v[34:35], s[14:15], v[131:132]
	;; [unrolled: 1-line block ×3, first 2 shown]
	v_fma_f64 v[127:128], v[34:35], s[18:19], -v[127:128]
	v_fma_f64 v[155:156], v[34:35], s[20:21], v[129:130]
	v_fma_f64 v[129:130], v[34:35], s[20:21], -v[129:130]
	v_fma_f64 v[131:132], v[34:35], s[14:15], -v[131:132]
	;; [unrolled: 1-line block ×3, first 2 shown]
	v_add_f64_e32 v[28:29], v[28:29], v[32:33]
	v_add_f64_e32 v[20:21], v[151:152], v[20:21]
	v_mul_f64_e32 v[32:33], s[28:29], v[46:47]
	v_mul_f64_e32 v[46:47], s[16:17], v[46:47]
	v_add_f64_e32 v[38:39], v[38:39], v[48:49]
	v_add_f64_e32 v[58:59], v[58:59], v[64:65]
	;; [unrolled: 1-line block ×3, first 2 shown]
	v_fma_f64 v[151:152], v[34:35], s[0:1], v[36:37]
	v_add_f64_e32 v[64:65], v[135:136], v[98:99]
	v_add_f64_e32 v[68:69], v[137:138], v[104:105]
	v_fma_f64 v[36:37], v[34:35], s[0:1], -v[36:37]
	v_fma_f64 v[161:162], v[34:35], s[12:13], v[62:63]
	v_fma_f64 v[34:35], v[34:35], s[12:13], -v[62:63]
	v_add_f64_e32 v[62:63], v[149:150], v[96:97]
	v_add_f64_e32 v[96:97], v[143:144], v[110:111]
	;; [unrolled: 1-line block ×9, first 2 shown]
	v_mul_f64_e32 v[100:101], s[30:31], v[22:23]
	v_mul_f64_e32 v[102:103], s[22:23], v[22:23]
	;; [unrolled: 1-line block ×4, first 2 shown]
	v_fma_f64 v[110:111], v[14:15], s[6:7], v[108:109]
	v_fma_f64 v[108:109], v[14:15], s[6:7], -v[108:109]
	v_fma_f64 v[112:113], v[14:15], s[0:1], v[114:115]
	v_fma_f64 v[114:115], v[14:15], s[0:1], -v[114:115]
	;; [unrolled: 2-line block ×3, first 2 shown]
	v_fma_f64 v[137:138], v[14:15], s[12:13], v[118:119]
	v_add_f64_e32 v[24:25], v[24:25], v[28:29]
	v_add_f64_e32 v[20:21], v[52:53], v[20:21]
	v_mul_f64_e32 v[28:29], s[34:35], v[22:23]
	v_mul_f64_e32 v[52:53], s[28:29], v[22:23]
	;; [unrolled: 1-line block ×3, first 2 shown]
	v_fma_f64 v[30:31], v[14:15], s[18:19], v[32:33]
	v_fma_f64 v[32:33], v[14:15], s[18:19], -v[32:33]
	v_fma_f64 v[118:119], v[14:15], s[12:13], -v[118:119]
	v_fma_f64 v[139:140], v[14:15], s[24:25], v[125:126]
	v_fma_f64 v[125:126], v[14:15], s[24:25], -v[125:126]
	v_fma_f64 v[141:142], v[14:15], s[2:3], v[46:47]
	v_fma_f64 v[14:15], v[14:15], s[2:3], -v[46:47]
	v_add_f64_e32 v[42:43], v[42:43], v[58:59]
	v_add_f64_e32 v[46:47], v[157:158], v[60:61]
	;; [unrolled: 1-line block ×14, first 2 shown]
	v_fma_f64 v[56:57], v[4:5], s[24:25], v[100:101]
	v_fma_f64 v[68:69], v[4:5], s[24:25], -v[100:101]
	v_fma_f64 v[72:73], v[4:5], s[14:15], v[102:103]
	v_fma_f64 v[96:97], v[4:5], s[14:15], -v[102:103]
	;; [unrolled: 2-line block ×4, first 2 shown]
	v_add_f64_e32 v[16:17], v[16:17], v[24:25]
	v_add_f64_e32 v[20:21], v[147:148], v[20:21]
	v_fma_f64 v[24:25], v[4:5], s[20:21], v[28:29]
	v_fma_f64 v[26:27], v[4:5], s[20:21], -v[28:29]
	v_fma_f64 v[28:29], v[4:5], s[18:19], v[52:53]
	v_fma_f64 v[52:53], v[4:5], s[18:19], -v[52:53]
	;; [unrolled: 2-line block ×3, first 2 shown]
	v_add_f64_e32 v[22:23], v[30:31], v[42:43]
	v_add_f64_e32 v[30:31], v[137:138], v[46:47]
	;; [unrolled: 1-line block ×31, first 2 shown]
	v_lshlrev_b32_e32 v16, 7, v120
	s_delay_alu instid0(VALU_DEP_1)
	v_add3_u32 v16, v124, v16, v121
	ds_store_2addr_b64 v16, v[24:25], v[32:33] offset0:4 offset1:5
	ds_store_2addr_b64 v16, v[10:11], v[38:39] offset0:6 offset1:7
	;; [unrolled: 1-line block ×7, first 2 shown]
	ds_store_2addr_b64 v16, v[8:9], v[18:19] offset1:1
	ds_store_b64 v16, v[12:13] offset:128
.LBB0_15:
	s_or_b32 exec_lo, exec_lo, s33
	v_and_b32_e32 v4, 0xff, v120
	global_wb scope:SCOPE_SE
	s_wait_dscnt 0x0
	s_barrier_signal -1
	s_barrier_wait -1
	global_inv scope:SCOPE_SE
	v_mul_lo_u16 v4, 0xf1, v4
	s_mov_b32 s2, 0xf8bb580b
	s_mov_b32 s36, 0x8eee2c13
	s_mov_b32 s18, 0x43842ef
	s_mov_b32 s3, 0xbfe14ced
	v_lshrrev_b16 v24, 12, v4
	s_mov_b32 s37, 0xbfed1bb4
	s_mov_b32 s19, 0xbfefac9e
	;; [unrolled: 1-line block ×4, first 2 shown]
	v_mul_lo_u16 v4, v24, 17
	s_mov_b32 s21, 0xbfe82f19
	s_mov_b32 s23, 0xbfd207e7
	;; [unrolled: 1-line block ×4, first 2 shown]
	v_sub_nc_u16 v4, v120, v4
	s_mov_b32 s6, 0x640f44db
	s_mov_b32 s15, 0x3feaeb8c
	;; [unrolled: 1-line block ×4, first 2 shown]
	v_and_b32_e32 v25, 0xff, v4
	s_mov_b32 s16, 0x7f775887
	s_mov_b32 s35, 0x3fd207e7
	;; [unrolled: 1-line block ×4, first 2 shown]
	v_mul_u32_u24_e32 v4, 10, v25
	s_wait_alu 0xfffe
	s_mov_b32 s34, s22
	s_mov_b32 s30, s18
	;; [unrolled: 1-line block ×4, first 2 shown]
	v_lshlrev_b32_e32 v4, 4, v4
	s_mov_b32 s17, 0xbfe4f49e
	s_mov_b32 s25, 0xbfeeb42a
	s_mov_b32 s29, 0x3fed1bb4
	s_mov_b32 s28, s36
	s_clause 0x9
	global_load_b128 v[8:11], v4, s[4:5]
	global_load_b128 v[12:15], v4, s[4:5] offset:16
	global_load_b128 v[16:19], v4, s[4:5] offset:144
	;; [unrolled: 1-line block ×9, first 2 shown]
	ds_load_2addr_b64 v[20:23], v70 offset0:102 offset1:204
	ds_load_2addr_b64 v[104:107], v123 offset0:50 offset1:152
	v_and_b32_e32 v24, 0xffff, v24
	v_lshlrev_b32_e32 v25, 3, v25
	v_cmp_gt_u32_e64 s0, 0x55, v120
	s_delay_alu instid0(VALU_DEP_3)
	v_mad_u32_u24 v24, 0x5d8, v24, 0
	s_wait_loadcnt_dscnt 0x901
	v_mul_f64_e32 v[4:5], v[20:21], v[10:11]
	s_wait_loadcnt 0x8
	v_mul_f64_e32 v[30:31], v[22:23], v[14:15]
	v_mul_f64_e32 v[14:15], v[92:93], v[14:15]
	s_wait_loadcnt_dscnt 0x600
	v_mul_f64_e32 v[34:35], v[104:105], v[28:29]
	s_wait_loadcnt 0x5
	v_mul_f64_e32 v[48:49], v[82:83], v[38:39]
	s_wait_loadcnt 0x4
	v_mul_f64_e32 v[52:53], v[106:107], v[58:59]
	v_mul_f64_e32 v[28:29], v[86:87], v[28:29]
	;; [unrolled: 1-line block ×3, first 2 shown]
	s_wait_loadcnt 0x1
	v_mul_f64_e32 v[68:69], v[74:75], v[98:99]
	v_fma_f64 v[44:45], v[90:91], v[8:9], -v[4:5]
	v_mul_f64_e32 v[4:5], v[90:91], v[10:11]
	v_mul_f64_e32 v[10:11], v[84:85], v[18:19]
	v_fma_f64 v[42:43], v[92:93], v[12:13], -v[30:31]
	ds_load_2addr_b64 v[30:33], v122 offset0:150 offset1:252
	v_fma_f64 v[22:23], v[22:23], v[12:13], v[14:15]
	ds_load_2addr_b64 v[12:15], v50 offset0:74 offset1:176
	s_wait_dscnt 0x1
	v_mul_f64_e32 v[18:19], v[32:33], v[18:19]
	v_mul_f64_e32 v[38:39], v[30:31], v[38:39]
	v_add_f64_e32 v[40:41], v[0:1], v[44:45]
	v_fma_f64 v[46:47], v[20:21], v[8:9], v[4:5]
	v_fma_f64 v[32:33], v[32:33], v[16:17], v[10:11]
	v_fma_f64 v[20:21], v[86:87], v[26:27], -v[34:35]
	ds_load_2addr_b64 v[8:11], v51 offset0:126 offset1:228
	v_fma_f64 v[4:5], v[30:31], v[36:37], v[48:49]
	s_wait_dscnt 0x1
	v_mul_f64_e32 v[86:87], v[12:13], v[98:99]
	s_wait_dscnt 0x0
	v_mul_f64_e32 v[48:49], v[8:9], v[66:67]
	v_fma_f64 v[54:55], v[84:85], v[16:17], -v[18:19]
	v_fma_f64 v[18:19], v[88:89], v[56:57], -v[52:53]
	;; [unrolled: 1-line block ×3, first 2 shown]
	v_mul_f64_e32 v[66:67], v[78:79], v[66:67]
	v_fma_f64 v[36:37], v[12:13], v[96:97], v[68:69]
	v_add_f64_e32 v[34:35], v[40:41], v[42:43]
	v_mul_f64_e32 v[40:41], v[76:77], v[62:63]
	v_add_f64_e64 v[30:31], v[46:47], -v[32:33]
	v_mul_f64_e32 v[62:63], v[14:15], v[62:63]
	v_fma_f64 v[38:39], v[78:79], v[64:65], -v[48:49]
	s_wait_loadcnt 0x0
	v_mul_f64_e32 v[78:79], v[80:81], v[102:103]
	v_add_f64_e32 v[68:69], v[42:43], v[50:51]
	v_add_f64_e32 v[52:53], v[34:35], v[20:21]
	v_fma_f64 v[34:35], v[104:105], v[26:27], v[28:29]
	v_fma_f64 v[16:17], v[14:15], v[60:61], v[40:41]
	v_add_f64_e64 v[14:15], v[22:23], -v[4:5]
	v_mul_f64_e32 v[26:27], v[10:11], v[102:103]
	v_add_f64_e32 v[28:29], v[44:45], v[54:55]
	v_mul_f64_e32 v[40:41], s[2:3], v[30:31]
	v_mul_f64_e32 v[72:73], s[36:37], v[30:31]
	;; [unrolled: 1-line block ×5, first 2 shown]
	v_fma_f64 v[62:63], v[76:77], v[60:61], -v[62:63]
	v_add_f64_e32 v[48:49], v[52:53], v[18:19]
	v_fma_f64 v[52:53], v[106:107], v[56:57], v[58:59]
	v_add_f64_e64 v[12:13], v[34:35], -v[16:17]
	v_mul_f64_e32 v[76:77], s[36:37], v[14:15]
	v_mul_f64_e32 v[88:89], s[20:21], v[14:15]
	s_wait_alu 0xfffe
	v_mul_f64_e32 v[90:91], s[34:35], v[14:15]
	v_mul_f64_e32 v[92:93], s[30:31], v[14:15]
	;; [unrolled: 1-line block ×3, first 2 shown]
	v_fma_f64 v[60:61], v[80:81], v[100:101], -v[26:27]
	v_fma_f64 v[26:27], v[28:29], s[14:15], -v[40:41]
	;; [unrolled: 1-line block ×3, first 2 shown]
	v_fma_f64 v[72:73], v[28:29], s[12:13], v[72:73]
	v_fma_f64 v[98:99], v[28:29], s[6:7], -v[82:83]
	v_fma_f64 v[102:103], v[28:29], s[16:17], -v[84:85]
	v_fma_f64 v[84:85], v[28:29], s[16:17], v[84:85]
	v_fma_f64 v[104:105], v[28:29], s[24:25], -v[30:31]
	v_fma_f64 v[30:31], v[28:29], s[24:25], v[30:31]
	v_fma_f64 v[82:83], v[28:29], s[6:7], v[82:83]
	;; [unrolled: 1-line block ×5, first 2 shown]
	v_fma_f64 v[64:65], v[74:75], v[96:97], -v[86:87]
	v_add_f64_e32 v[8:9], v[20:21], v[62:63]
	v_add_f64_e32 v[40:41], v[48:49], v[38:39]
	v_add_f64_e64 v[10:11], v[52:53], -v[36:37]
	v_mul_f64_e32 v[48:49], s[18:19], v[12:13]
	v_mul_f64_e32 v[66:67], s[34:35], v[12:13]
	;; [unrolled: 1-line block ×5, first 2 shown]
	v_fma_f64 v[86:87], v[68:69], s[12:13], -v[76:77]
	v_fma_f64 v[76:77], v[68:69], s[12:13], v[76:77]
	v_fma_f64 v[96:97], v[68:69], s[16:17], -v[88:89]
	v_fma_f64 v[88:89], v[68:69], s[16:17], v[88:89]
	;; [unrolled: 2-line block ×5, first 2 shown]
	v_add_f64_e32 v[26:27], v[0:1], v[26:27]
	v_add_f64_e32 v[68:69], v[0:1], v[80:81]
	v_add_f64_e32 v[72:73], v[0:1], v[72:73]
	v_add_f64_e32 v[80:81], v[0:1], v[98:99]
	v_add_f64_e32 v[98:99], v[0:1], v[102:103]
	v_add_f64_e32 v[84:85], v[0:1], v[84:85]
	v_add_f64_e32 v[102:103], v[0:1], v[104:105]
	v_add_f64_e32 v[30:31], v[0:1], v[30:31]
	v_add_f64_e32 v[82:83], v[0:1], v[82:83]
	v_add_f64_e32 v[0:1], v[0:1], v[28:29]
	v_add_f64_e64 v[104:105], v[56:57], -v[58:59]
	v_add_f64_e32 v[28:29], v[40:41], v[60:61]
	v_add_f64_e32 v[40:41], v[18:19], v[64:65]
	v_mul_f64_e32 v[110:111], s[20:21], v[10:11]
	v_mul_f64_e32 v[112:113], s[30:31], v[10:11]
	;; [unrolled: 1-line block ×5, first 2 shown]
	v_fma_f64 v[118:119], v[8:9], s[6:7], -v[48:49]
	v_fma_f64 v[48:49], v[8:9], s[6:7], v[48:49]
	v_fma_f64 v[122:123], v[8:9], s[24:25], -v[66:67]
	v_fma_f64 v[66:67], v[8:9], s[24:25], v[66:67]
	;; [unrolled: 2-line block ×5, first 2 shown]
	v_add_f64_e32 v[12:13], v[86:87], v[26:27]
	v_add_f64_e32 v[26:27], v[96:97], v[68:69]
	;; [unrolled: 1-line block ×11, first 2 shown]
	v_mul_f64_e32 v[82:83], s[22:23], v[104:105]
	v_mul_f64_e32 v[88:89], s[26:27], v[104:105]
	;; [unrolled: 1-line block ×5, first 2 shown]
	v_add_f64_e32 v[28:29], v[28:29], v[64:65]
	v_fma_f64 v[98:99], v[40:41], s[16:17], -v[110:111]
	v_fma_f64 v[100:101], v[40:41], s[16:17], v[110:111]
	v_fma_f64 v[102:103], v[40:41], s[6:7], -v[112:113]
	v_fma_f64 v[104:105], v[40:41], s[6:7], v[112:113]
	v_fma_f64 v[106:107], v[40:41], s[14:15], -v[114:115]
	v_fma_f64 v[108:109], v[40:41], s[14:15], v[114:115]
	v_fma_f64 v[110:111], v[40:41], s[24:25], -v[116:117]
	v_fma_f64 v[112:113], v[40:41], s[24:25], v[116:117]
	v_fma_f64 v[114:115], v[40:41], s[12:13], -v[10:11]
	v_fma_f64 v[10:11], v[40:41], s[12:13], v[10:11]
	v_add_f64_e32 v[12:13], v[118:119], v[12:13]
	v_add_f64_e32 v[26:27], v[122:123], v[26:27]
	;; [unrolled: 1-line block ×10, first 2 shown]
	v_fma_f64 v[30:31], v[76:77], s[24:25], -v[82:83]
	v_fma_f64 v[48:49], v[76:77], s[24:25], v[82:83]
	v_fma_f64 v[74:75], v[76:77], s[14:15], -v[88:89]
	v_fma_f64 v[80:81], v[76:77], s[14:15], v[88:89]
	v_fma_f64 v[82:83], v[76:77], s[16:17], -v[90:91]
	v_fma_f64 v[84:85], v[76:77], s[16:17], v[90:91]
	v_fma_f64 v[86:87], v[76:77], s[12:13], -v[92:93]
	v_fma_f64 v[90:91], v[76:77], s[6:7], -v[96:97]
	v_fma_f64 v[88:89], v[76:77], s[12:13], v[92:93]
	v_fma_f64 v[76:77], v[76:77], s[6:7], v[96:97]
	v_add_f64_e32 v[28:29], v[28:29], v[62:63]
	v_add_f64_e32 v[12:13], v[98:99], v[12:13]
	;; [unrolled: 1-line block ×22, first 2 shown]
	v_add_nc_u32_e32 v68, 0x400, v70
	v_add3_u32 v72, v24, v25, v121
	v_add_nc_u32_e32 v69, 0x1000, v70
	ds_load_b64 v[66:67], v71
	global_wb scope:SCOPE_SE
	s_wait_dscnt 0x0
	s_barrier_signal -1
	s_barrier_wait -1
	global_inv scope:SCOPE_SE
	v_add_f64_e32 v[28:29], v[28:29], v[54:55]
	ds_store_2addr_b64 v72, v[26:27], v[40:41] offset0:34 offset1:51
	ds_store_2addr_b64 v72, v[74:75], v[78:79] offset0:68 offset1:85
	;; [unrolled: 1-line block ×4, first 2 shown]
	ds_store_b64 v72, v[0:1] offset:1360
	ds_store_2addr_b64 v72, v[28:29], v[30:31] offset1:17
	global_wb scope:SCOPE_SE
	s_wait_dscnt 0x0
	s_barrier_signal -1
	s_barrier_wait -1
	global_inv scope:SCOPE_SE
	ds_load_2addr_b64 v[28:31], v68 offset0:59 offset1:246
	ds_load_2addr_b64 v[24:27], v69 offset0:49 offset1:236
	ds_load_b64 v[40:41], v71
	ds_load_b64 v[48:49], v70 offset:7480
	s_and_saveexec_b32 s1, s0
	s_cbranch_execz .LBB0_17
; %bb.16:
	v_add_nc_u32_e32 v0, 0x200, v70
	v_add_nc_u32_e32 v1, 0xe00, v70
	;; [unrolled: 1-line block ×3, first 2 shown]
	ds_load_2addr_b64 v[8:11], v0 offset0:38 offset1:225
	ds_load_2addr_b64 v[12:15], v1 offset0:28 offset1:215
	;; [unrolled: 1-line block ×3, first 2 shown]
.LBB0_17:
	s_wait_alu 0xfffe
	s_or_b32 exec_lo, exec_lo, s1
	v_add_f64_e32 v[73:74], v[66:67], v[46:47]
	v_add_f64_e64 v[44:45], v[44:45], -v[54:55]
	v_add_f64_e64 v[42:43], v[42:43], -v[50:51]
	v_add_f64_e32 v[46:47], v[46:47], v[32:33]
	v_add_f64_e64 v[20:21], v[20:21], -v[62:63]
	v_add_f64_e64 v[18:19], v[18:19], -v[64:65]
	;; [unrolled: 1-line block ×3, first 2 shown]
	global_wb scope:SCOPE_SE
	s_wait_dscnt 0x0
	s_barrier_signal -1
	s_barrier_wait -1
	global_inv scope:SCOPE_SE
	v_add_f64_e32 v[73:74], v[73:74], v[22:23]
	v_mul_f64_e32 v[50:51], s[2:3], v[44:45]
	v_mul_f64_e32 v[75:76], s[18:19], v[44:45]
	;; [unrolled: 1-line block ×3, first 2 shown]
	v_add_f64_e32 v[22:23], v[22:23], v[4:5]
	v_mul_f64_e32 v[62:63], s[36:37], v[42:43]
	v_mul_f64_e32 v[79:80], s[20:21], v[42:43]
	;; [unrolled: 1-line block ×10, first 2 shown]
	v_add_f64_e32 v[54:55], v[73:74], v[34:35]
	v_mul_f64_e32 v[73:74], s[36:37], v[44:45]
	v_mul_f64_e32 v[44:45], s[22:23], v[44:45]
	v_fma_f64 v[85:86], v[46:47], s[14:15], v[50:51]
	v_fma_f64 v[89:90], v[46:47], s[6:7], v[75:76]
	;; [unrolled: 1-line block ×3, first 2 shown]
	v_fma_f64 v[77:78], v[46:47], s[16:17], -v[77:78]
	v_fma_f64 v[75:76], v[46:47], s[6:7], -v[75:76]
	v_add_f64_e32 v[34:35], v[34:35], v[16:17]
	v_fma_f64 v[102:103], v[22:23], s[12:13], v[62:63]
	v_fma_f64 v[62:63], v[22:23], s[12:13], -v[62:63]
	v_fma_f64 v[104:105], v[22:23], s[16:17], v[79:80]
	v_fma_f64 v[79:80], v[22:23], s[16:17], -v[79:80]
	;; [unrolled: 2-line block ×5, first 2 shown]
	v_add_f64_e32 v[54:55], v[54:55], v[52:53]
	v_fma_f64 v[87:88], v[46:47], s[12:13], v[73:74]
	v_fma_f64 v[73:74], v[46:47], s[12:13], -v[73:74]
	v_fma_f64 v[96:97], v[46:47], s[24:25], v[44:45]
	v_fma_f64 v[44:45], v[46:47], s[24:25], -v[44:45]
	v_fma_f64 v[46:47], v[46:47], s[14:15], -v[50:51]
	v_add_f64_e32 v[42:43], v[66:67], v[85:86]
	v_add_f64_e32 v[77:78], v[66:67], v[77:78]
	;; [unrolled: 1-line block ×4, first 2 shown]
	v_fma_f64 v[116:117], v[34:35], s[24:25], v[64:65]
	v_fma_f64 v[64:65], v[34:35], s[24:25], -v[64:65]
	v_fma_f64 v[118:119], v[34:35], s[12:13], v[98:99]
	v_fma_f64 v[98:99], v[34:35], s[12:13], -v[98:99]
	;; [unrolled: 2-line block ×3, first 2 shown]
	v_add_f64_e32 v[50:51], v[54:55], v[56:57]
	v_mul_f64_e32 v[54:55], s[18:19], v[20:21]
	v_mul_f64_e32 v[20:21], s[20:21], v[20:21]
	v_add_f64_e32 v[85:86], v[66:67], v[87:88]
	v_add_f64_e32 v[73:74], v[66:67], v[73:74]
	;; [unrolled: 1-line block ×7, first 2 shown]
	v_mul_f64_e32 v[66:67], s[30:31], v[18:19]
	v_mul_f64_e32 v[96:97], s[2:3], v[18:19]
	;; [unrolled: 1-line block ×3, first 2 shown]
	v_add_f64_e32 v[77:78], v[83:84], v[77:78]
	v_add_f64_e32 v[50:51], v[50:51], v[58:59]
	v_fma_f64 v[114:115], v[34:35], s[6:7], v[54:55]
	v_fma_f64 v[54:55], v[34:35], s[6:7], -v[54:55]
	v_fma_f64 v[123:124], v[34:35], s[16:17], v[20:21]
	v_fma_f64 v[20:21], v[34:35], s[16:17], -v[20:21]
	v_add_f64_e32 v[34:35], v[102:103], v[42:43]
	v_add_f64_e32 v[42:43], v[104:105], v[85:86]
	;; [unrolled: 1-line block ×9, first 2 shown]
	v_mul_f64_e32 v[62:63], s[20:21], v[38:39]
	v_mul_f64_e32 v[75:76], s[28:29], v[38:39]
	v_fma_f64 v[81:82], v[52:53], s[16:17], v[60:61]
	v_fma_f64 v[60:61], v[52:53], s[16:17], -v[60:61]
	v_fma_f64 v[87:88], v[52:53], s[6:7], v[66:67]
	v_fma_f64 v[66:67], v[52:53], s[6:7], -v[66:67]
	;; [unrolled: 2-line block ×5, first 2 shown]
	v_add_f64_e32 v[77:78], v[100:101], v[77:78]
	v_add_f64_e32 v[36:37], v[50:51], v[36:37]
	;; [unrolled: 1-line block ×3, first 2 shown]
	v_mul_f64_e32 v[56:57], s[22:23], v[38:39]
	v_mul_f64_e32 v[58:59], s[26:27], v[38:39]
	;; [unrolled: 1-line block ×3, first 2 shown]
	v_add_f64_e32 v[34:35], v[114:115], v[34:35]
	v_add_f64_e32 v[42:43], v[116:117], v[42:43]
	;; [unrolled: 1-line block ×10, first 2 shown]
	v_fma_f64 v[83:84], v[50:51], s[12:13], v[75:76]
	v_fma_f64 v[36:37], v[50:51], s[24:25], v[56:57]
	v_fma_f64 v[46:47], v[50:51], s[24:25], -v[56:57]
	v_fma_f64 v[54:55], v[50:51], s[14:15], v[58:59]
	v_fma_f64 v[56:57], v[50:51], s[14:15], -v[58:59]
	;; [unrolled: 2-line block ×3, first 2 shown]
	v_fma_f64 v[75:76], v[50:51], s[12:13], -v[75:76]
	v_fma_f64 v[85:86], v[50:51], s[6:7], v[38:39]
	v_fma_f64 v[38:39], v[50:51], s[6:7], -v[38:39]
	v_add_f64_e32 v[34:35], v[81:82], v[34:35]
	v_add_f64_e32 v[42:43], v[87:88], v[42:43]
	;; [unrolled: 1-line block ×22, first 2 shown]
	ds_store_2addr_b64 v72, v[36:37], v[42:43] offset0:34 offset1:51
	ds_store_2addr_b64 v72, v[50:51], v[52:53] offset0:68 offset1:85
	ds_store_2addr_b64 v72, v[16:17], v[18:19] offset0:102 offset1:119
	ds_store_2addr_b64 v72, v[20:21], v[22:23] offset0:136 offset1:153
	ds_store_b64 v72, v[4:5] offset:1360
	ds_store_2addr_b64 v72, v[32:33], v[34:35] offset1:17
	global_wb scope:SCOPE_SE
	s_wait_dscnt 0x0
	s_barrier_signal -1
	s_barrier_wait -1
	global_inv scope:SCOPE_SE
	ds_load_2addr_b64 v[32:35], v68 offset0:59 offset1:246
	ds_load_2addr_b64 v[36:39], v69 offset0:49 offset1:236
	ds_load_b64 v[42:43], v71
	ds_load_b64 v[44:45], v70 offset:7480
	s_and_saveexec_b32 s1, s0
	s_cbranch_execz .LBB0_19
; %bb.18:
	v_add_nc_u32_e32 v4, 0x200, v70
	v_add_nc_u32_e32 v5, 0xe00, v70
	;; [unrolled: 1-line block ×3, first 2 shown]
	ds_load_2addr_b64 v[16:19], v4 offset0:38 offset1:225
	ds_load_2addr_b64 v[20:23], v5 offset0:28 offset1:215
	;; [unrolled: 1-line block ×3, first 2 shown]
.LBB0_19:
	s_wait_alu 0xfffe
	s_or_b32 exec_lo, exec_lo, s1
	s_and_saveexec_b32 s1, vcc_lo
	s_cbranch_execz .LBB0_22
; %bb.20:
	v_mul_u32_u24_e32 v46, 5, v120
	s_mov_b32 s2, 0xe8584caa
	s_mov_b32 s3, 0x3febb67a
	;; [unrolled: 1-line block ×3, first 2 shown]
	s_wait_alu 0xfffe
	s_mov_b32 s6, s2
	v_lshlrev_b32_e32 v46, 4, v46
	s_clause 0x4
	global_load_b128 v[50:53], v46, s[4:5] offset:2752
	global_load_b128 v[54:57], v46, s[4:5] offset:2784
	;; [unrolled: 1-line block ×5, first 2 shown]
	s_wait_loadcnt_dscnt 0x402
	v_mul_f64_e32 v[46:47], v[36:37], v[52:53]
	v_mul_f64_e32 v[52:53], v[24:25], v[52:53]
	s_wait_loadcnt 0x3
	v_mul_f64_e32 v[70:71], v[48:49], v[56:57]
	s_wait_dscnt 0x0
	v_mul_f64_e32 v[56:57], v[44:45], v[56:57]
	s_wait_loadcnt 0x2
	v_mul_f64_e32 v[72:73], v[32:33], v[60:61]
	v_mul_f64_e32 v[60:61], v[28:29], v[60:61]
	v_fma_f64 v[24:25], v[24:25], v[50:51], -v[46:47]
	v_fma_f64 v[36:37], v[36:37], v[50:51], v[52:53]
	v_fma_f64 v[44:45], v[44:45], v[54:55], v[70:71]
	v_fma_f64 v[46:47], v[48:49], v[54:55], -v[56:57]
	s_wait_loadcnt 0x1
	v_mul_f64_e32 v[48:49], v[34:35], v[64:65]
	v_mul_f64_e32 v[50:51], v[30:31], v[64:65]
	s_wait_loadcnt 0x0
	v_mul_f64_e32 v[52:53], v[26:27], v[68:69]
	v_mul_f64_e32 v[54:55], v[38:39], v[68:69]
	v_fma_f64 v[28:29], v[28:29], v[58:59], -v[72:73]
	v_fma_f64 v[32:33], v[32:33], v[58:59], v[60:61]
	v_mad_co_u64_u32 v[64:65], null, s8, v120, 0
	v_add_nc_u32_e32 v73, 0x176, v120
	v_add_f64_e32 v[56:57], v[36:37], v[44:45]
	v_add_f64_e32 v[58:59], v[24:25], v[46:47]
	v_fma_f64 v[30:31], v[30:31], v[62:63], -v[48:49]
	v_fma_f64 v[34:35], v[34:35], v[62:63], v[50:51]
	v_fma_f64 v[38:39], v[38:39], v[66:67], v[52:53]
	v_fma_f64 v[26:27], v[26:27], v[66:67], -v[54:55]
	v_add_f64_e64 v[48:49], v[36:37], -v[44:45]
	v_add_f64_e64 v[50:51], v[24:25], -v[46:47]
	v_add_f64_e32 v[24:25], v[28:29], v[24:25]
	v_fma_f64 v[52:53], v[56:57], -0.5, v[32:33]
	v_fma_f64 v[54:55], v[58:59], -0.5, v[28:29]
	v_add_f64_e32 v[32:33], v[32:33], v[36:37]
	v_add_f64_e32 v[56:57], v[34:35], v[38:39]
	;; [unrolled: 1-line block ×3, first 2 shown]
	v_fma_f64 v[60:61], v[50:51], s[2:3], v[52:53]
	v_fma_f64 v[62:63], v[48:49], s[2:3], v[54:55]
	s_wait_alu 0xfffe
	v_fma_f64 v[48:49], v[48:49], s[6:7], v[54:55]
	v_fma_f64 v[50:51], v[50:51], s[6:7], v[52:53]
	v_add_f64_e64 v[52:53], v[30:31], -v[26:27]
	v_add_f64_e32 v[30:31], v[40:41], v[30:31]
	v_add_f64_e32 v[54:55], v[42:43], v[34:35]
	v_fma_f64 v[28:29], v[56:57], -0.5, v[42:43]
	v_add_f64_e64 v[34:35], v[34:35], -v[38:39]
	v_fma_f64 v[36:37], v[58:59], -0.5, v[40:41]
	v_add_f64_e32 v[32:33], v[32:33], v[44:45]
	v_add_f64_e32 v[44:45], v[24:25], v[46:47]
	v_add_co_u32 v24, vcc_lo, s10, v94
	s_wait_alu 0xfffd
	v_add_co_ci_u32_e32 v25, vcc_lo, s11, v95, vcc_lo
	v_mul_f64_e32 v[40:41], -0.5, v[60:61]
	v_mul_f64_e32 v[42:43], s[6:7], v[62:63]
	v_mul_f64_e32 v[56:57], -0.5, v[48:49]
	v_mul_f64_e32 v[58:59], s[2:3], v[50:51]
	v_add_f64_e32 v[30:31], v[30:31], v[26:27]
	v_mov_b32_e32 v26, v65
	v_add_f64_e32 v[38:39], v[54:55], v[38:39]
	v_fma_f64 v[46:47], v[52:53], s[2:3], v[28:29]
	v_fma_f64 v[52:53], v[52:53], s[6:7], v[28:29]
	;; [unrolled: 1-line block ×3, first 2 shown]
	v_mad_co_u64_u32 v[26:27], null, s9, v120, v[26:27]
	v_add_nc_u32_e32 v76, 0x3a7, v120
	v_fma_f64 v[34:35], v[34:35], s[2:3], v[36:37]
	v_mad_co_u64_u32 v[68:69], null, s8, v73, 0
	v_add_nc_u32_e32 v75, 0x2ec, v120
	s_delay_alu instid0(VALU_DEP_2)
	v_dual_mov_b32 v65, v26 :: v_dual_mov_b32 v28, v69
	v_fma_f64 v[40:41], v[48:49], s[6:7], v[40:41]
	v_fma_f64 v[48:49], v[50:51], 0.5, v[42:43]
	v_fma_f64 v[50:51], v[60:61], s[2:3], v[56:57]
	v_fma_f64 v[56:57], v[62:63], 0.5, v[58:59]
	v_mad_co_u64_u32 v[60:61], null, s8, v76, 0
	v_add_nc_u32_e32 v74, 0x231, v120
	v_mad_co_u64_u32 v[58:59], null, s8, v75, 0
	s_delay_alu instid0(VALU_DEP_3) | instskip(NEXT) | instid1(VALU_DEP_3)
	v_mov_b32_e32 v37, v61
	v_mad_co_u64_u32 v[70:71], null, s8, v74, 0
	s_delay_alu instid0(VALU_DEP_1) | instskip(NEXT) | instid1(VALU_DEP_1)
	v_dual_mov_b32 v29, v71 :: v_dual_add_nc_u32 v72, 0xbb, v120
	v_mad_co_u64_u32 v[66:67], null, s8, v72, 0
	s_delay_alu instid0(VALU_DEP_2) | instskip(NEXT) | instid1(VALU_DEP_2)
	v_mad_co_u64_u32 v[61:62], null, s9, v74, v[29:30]
	v_mov_b32_e32 v27, v67
	s_delay_alu instid0(VALU_DEP_2) | instskip(NEXT) | instid1(VALU_DEP_2)
	v_mov_b32_e32 v71, v61
	v_mad_co_u64_u32 v[42:43], null, s9, v72, v[27:28]
	v_mad_co_u64_u32 v[27:28], null, s9, v73, v[28:29]
	v_mov_b32_e32 v36, v59
	v_add_f64_e64 v[28:29], v[38:39], -v[32:33]
	v_add_f64_e32 v[32:33], v[38:39], v[32:33]
	v_mad_co_u64_u32 v[72:73], null, s9, v76, v[37:38]
	v_mov_b32_e32 v67, v42
	v_mov_b32_e32 v69, v27
	v_add_f64_e64 v[26:27], v[30:31], -v[44:45]
	v_add_f64_e32 v[30:31], v[30:31], v[44:45]
	v_add_f64_e32 v[44:45], v[52:53], v[48:49]
	;; [unrolled: 1-line block ×3, first 2 shown]
	v_mad_co_u64_u32 v[62:63], null, s9, v75, v[36:37]
	v_add_f64_e64 v[36:37], v[46:47], -v[40:41]
	v_add_f64_e32 v[40:41], v[46:47], v[40:41]
	v_add_f64_e32 v[38:39], v[54:55], v[50:51]
	v_add_f64_e64 v[48:49], v[52:53], -v[48:49]
	v_add_f64_e64 v[46:47], v[34:35], -v[56:57]
	;; [unrolled: 1-line block ×3, first 2 shown]
	v_lshlrev_b64_e32 v[63:64], 4, v[64:65]
	v_mov_b32_e32 v59, v62
	v_mov_b32_e32 v61, v72
	v_lshlrev_b64_e32 v[50:51], 4, v[66:67]
	v_lshlrev_b64_e32 v[52:53], 4, v[68:69]
	;; [unrolled: 1-line block ×5, first 2 shown]
	v_add_co_u32 v60, vcc_lo, v24, v63
	s_wait_alu 0xfffd
	v_add_co_ci_u32_e32 v61, vcc_lo, v25, v64, vcc_lo
	v_add_co_u32 v50, vcc_lo, v24, v50
	s_wait_alu 0xfffd
	v_add_co_ci_u32_e32 v51, vcc_lo, v25, v51, vcc_lo
	;; [unrolled: 3-line block ×6, first 2 shown]
	s_clause 0x5
	global_store_b128 v[60:61], v[30:33], off
	global_store_b128 v[50:51], v[42:45], off
	;; [unrolled: 1-line block ×6, first 2 shown]
	s_and_b32 exec_lo, exec_lo, s0
	s_cbranch_execz .LBB0_22
; %bb.21:
	v_dual_mov_b32 v27, 0 :: v_dual_add_nc_u32 v54, 0x66, v120
	v_add_nc_u32_e32 v26, 0xffffffab, v120
	v_add_nc_u32_e32 v57, 0x297, v120
	;; [unrolled: 1-line block ×3, first 2 shown]
	s_delay_alu instid0(VALU_DEP_3) | instskip(NEXT) | instid1(VALU_DEP_1)
	v_cndmask_b32_e64 v26, v26, v54, s0
	v_mul_i32_i24_e32 v26, 5, v26
	s_delay_alu instid0(VALU_DEP_1) | instskip(NEXT) | instid1(VALU_DEP_1)
	v_lshlrev_b64_e32 v[26:27], 4, v[26:27]
	v_add_co_u32 v42, vcc_lo, s4, v26
	s_wait_alu 0xfffd
	s_delay_alu instid0(VALU_DEP_2)
	v_add_co_ci_u32_e32 v43, vcc_lo, s5, v27, vcc_lo
	s_clause 0x4
	global_load_b128 v[26:29], v[42:43], off offset:2752
	global_load_b128 v[30:33], v[42:43], off offset:2784
	;; [unrolled: 1-line block ×5, first 2 shown]
	s_wait_loadcnt 0x4
	v_mul_f64_e32 v[46:47], v[22:23], v[28:29]
	v_mul_f64_e32 v[28:29], v[14:15], v[28:29]
	s_wait_loadcnt 0x3
	v_mul_f64_e32 v[48:49], v[2:3], v[32:33]
	v_mul_f64_e32 v[32:33], v[6:7], v[32:33]
	;; [unrolled: 3-line block ×3, first 2 shown]
	v_fma_f64 v[14:15], v[14:15], v[26:27], -v[46:47]
	v_fma_f64 v[22:23], v[22:23], v[26:27], v[28:29]
	v_fma_f64 v[6:7], v[6:7], v[30:31], v[48:49]
	v_fma_f64 v[2:3], v[2:3], v[30:31], -v[32:33]
	s_wait_loadcnt 0x1
	v_mul_f64_e32 v[26:27], v[20:21], v[40:41]
	v_mul_f64_e32 v[28:29], v[12:13], v[40:41]
	s_wait_loadcnt 0x0
	v_mul_f64_e32 v[30:31], v[4:5], v[44:45]
	v_mul_f64_e32 v[32:33], v[0:1], v[44:45]
	v_fma_f64 v[10:11], v[10:11], v[34:35], -v[50:51]
	v_fma_f64 v[18:19], v[18:19], v[34:35], v[36:37]
	v_add_f64_e32 v[34:35], v[22:23], v[6:7]
	v_add_f64_e32 v[36:37], v[14:15], v[2:3]
	v_fma_f64 v[12:13], v[12:13], v[38:39], -v[26:27]
	v_fma_f64 v[20:21], v[20:21], v[38:39], v[28:29]
	v_fma_f64 v[0:1], v[0:1], v[42:43], -v[30:31]
	v_fma_f64 v[4:5], v[4:5], v[42:43], v[32:33]
	v_add_f64_e64 v[26:27], v[22:23], -v[6:7]
	v_add_f64_e64 v[28:29], v[14:15], -v[2:3]
	v_mad_co_u64_u32 v[42:43], null, s8, v54, 0
	v_add_nc_u32_e32 v55, 0x121, v120
	v_fma_f64 v[30:31], v[34:35], -0.5, v[18:19]
	v_fma_f64 v[32:33], v[36:37], -0.5, v[10:11]
	v_add_f64_e32 v[10:11], v[10:11], v[14:15]
	v_add_f64_e32 v[14:15], v[18:19], v[22:23]
	;; [unrolled: 1-line block ×4, first 2 shown]
	v_fma_f64 v[38:39], v[28:29], s[6:7], v[30:31]
	v_fma_f64 v[40:41], v[26:27], s[6:7], v[32:33]
	;; [unrolled: 1-line block ×4, first 2 shown]
	v_add_f64_e64 v[32:33], v[20:21], -v[4:5]
	v_add_f64_e32 v[20:21], v[16:17], v[20:21]
	v_add_f64_e32 v[30:31], v[8:9], v[12:13]
	v_fma_f64 v[8:9], v[34:35], -0.5, v[8:9]
	v_add_f64_e64 v[12:13], v[12:13], -v[0:1]
	v_fma_f64 v[16:17], v[36:37], -0.5, v[16:17]
	v_add_f64_e32 v[6:7], v[14:15], v[6:7]
	v_mul_f64_e32 v[18:19], s[2:3], v[38:39]
	v_mul_f64_e32 v[22:23], -0.5, v[40:41]
	v_mul_f64_e32 v[34:35], s[6:7], v[26:27]
	v_mul_f64_e32 v[36:37], -0.5, v[28:29]
	v_add_f64_e32 v[20:21], v[20:21], v[4:5]
	v_add_f64_e32 v[4:5], v[10:11], v[2:3]
	;; [unrolled: 1-line block ×3, first 2 shown]
	v_mov_b32_e32 v0, v43
	v_fma_f64 v[48:49], v[32:33], s[2:3], v[8:9]
	v_fma_f64 v[50:51], v[12:13], s[6:7], v[16:17]
	v_fma_f64 v[52:53], v[12:13], s[2:3], v[16:17]
	v_fma_f64 v[32:33], v[32:33], s[6:7], v[8:9]
	v_mad_co_u64_u32 v[44:45], null, s8, v55, 0
	s_delay_alu instid0(VALU_DEP_1) | instskip(NEXT) | instid1(VALU_DEP_1)
	v_mov_b32_e32 v1, v45
	v_mad_co_u64_u32 v[10:11], null, s9, v54, v[0:1]
	s_delay_alu instid0(VALU_DEP_1)
	v_mov_b32_e32 v43, v10
	v_fma_f64 v[16:17], v[26:27], 0.5, v[18:19]
	v_fma_f64 v[18:19], v[28:29], s[2:3], v[22:23]
	v_fma_f64 v[22:23], v[38:39], 0.5, v[34:35]
	v_fma_f64 v[26:27], v[40:41], s[6:7], v[36:37]
	v_mad_co_u64_u32 v[28:29], null, s8, v57, 0
	v_add_nc_u32_e32 v56, 0x1dc, v120
	v_mad_co_u64_u32 v[36:37], null, s8, v59, 0
	s_delay_alu instid0(VALU_DEP_3) | instskip(NEXT) | instid1(VALU_DEP_3)
	v_dual_mov_b32 v3, v29 :: v_dual_add_nc_u32 v58, 0x352, v120
	v_mad_co_u64_u32 v[46:47], null, s8, v56, 0
	s_delay_alu instid0(VALU_DEP_3) | instskip(NEXT) | instid1(VALU_DEP_3)
	v_mov_b32_e32 v9, v37
	v_mad_co_u64_u32 v[34:35], null, s8, v58, 0
	s_delay_alu instid0(VALU_DEP_3) | instskip(NEXT) | instid1(VALU_DEP_2)
	v_mov_b32_e32 v2, v47
	v_mov_b32_e32 v8, v35
	s_delay_alu instid0(VALU_DEP_2) | instskip(SKIP_2) | instid1(VALU_DEP_4)
	v_mad_co_u64_u32 v[0:1], null, s9, v55, v[1:2]
	v_mad_co_u64_u32 v[1:2], null, s9, v56, v[2:3]
	;; [unrolled: 1-line block ×4, first 2 shown]
	s_delay_alu instid0(VALU_DEP_4)
	v_mov_b32_e32 v45, v0
	v_mad_co_u64_u32 v[38:39], null, s9, v59, v[9:10]
	v_mov_b32_e32 v47, v1
	v_mov_b32_e32 v29, v2
	v_add_f64_e32 v[0:1], v[30:31], v[4:5]
	v_add_f64_e32 v[2:3], v[20:21], v[6:7]
	;; [unrolled: 1-line block ×6, first 2 shown]
	v_add_f64_e64 v[4:5], v[30:31], -v[4:5]
	v_add_f64_e64 v[6:7], v[20:21], -v[6:7]
	;; [unrolled: 1-line block ×6, first 2 shown]
	v_lshlrev_b64_e32 v[26:27], 4, v[42:43]
	v_lshlrev_b64_e32 v[30:31], 4, v[44:45]
	;; [unrolled: 1-line block ×3, first 2 shown]
	v_mov_b32_e32 v35, v37
	v_lshlrev_b64_e32 v[28:29], 4, v[28:29]
	v_mov_b32_e32 v37, v38
	v_add_co_u32 v26, vcc_lo, v24, v26
	s_wait_alu 0xfffd
	v_add_co_ci_u32_e32 v27, vcc_lo, v25, v27, vcc_lo
	v_add_co_u32 v30, vcc_lo, v24, v30
	s_wait_alu 0xfffd
	v_add_co_ci_u32_e32 v31, vcc_lo, v25, v31, vcc_lo
	v_lshlrev_b64_e32 v[34:35], 4, v[34:35]
	v_add_co_u32 v32, vcc_lo, v24, v32
	s_wait_alu 0xfffd
	v_add_co_ci_u32_e32 v33, vcc_lo, v25, v33, vcc_lo
	v_lshlrev_b64_e32 v[36:37], 4, v[36:37]
	v_add_co_u32 v28, vcc_lo, v24, v28
	s_wait_alu 0xfffd
	v_add_co_ci_u32_e32 v29, vcc_lo, v25, v29, vcc_lo
	v_add_co_u32 v34, vcc_lo, v24, v34
	s_wait_alu 0xfffd
	v_add_co_ci_u32_e32 v35, vcc_lo, v25, v35, vcc_lo
	v_add_co_u32 v24, vcc_lo, v24, v36
	s_wait_alu 0xfffd
	v_add_co_ci_u32_e32 v25, vcc_lo, v25, v37, vcc_lo
	s_clause 0x5
	global_store_b128 v[26:27], v[0:3], off
	global_store_b128 v[30:31], v[8:11], off
	;; [unrolled: 1-line block ×6, first 2 shown]
.LBB0_22:
	s_nop 0
	s_sendmsg sendmsg(MSG_DEALLOC_VGPRS)
	s_endpgm
	.section	.rodata,"a",@progbits
	.p2align	6, 0x0
	.amdhsa_kernel fft_rtc_fwd_len1122_factors_17_11_6_wgs_204_tpt_102_halfLds_dp_ip_CI_sbrr_dirReg
		.amdhsa_group_segment_fixed_size 0
		.amdhsa_private_segment_fixed_size 0
		.amdhsa_kernarg_size 88
		.amdhsa_user_sgpr_count 2
		.amdhsa_user_sgpr_dispatch_ptr 0
		.amdhsa_user_sgpr_queue_ptr 0
		.amdhsa_user_sgpr_kernarg_segment_ptr 1
		.amdhsa_user_sgpr_dispatch_id 0
		.amdhsa_user_sgpr_private_segment_size 0
		.amdhsa_wavefront_size32 1
		.amdhsa_uses_dynamic_stack 0
		.amdhsa_enable_private_segment 0
		.amdhsa_system_sgpr_workgroup_id_x 1
		.amdhsa_system_sgpr_workgroup_id_y 0
		.amdhsa_system_sgpr_workgroup_id_z 0
		.amdhsa_system_sgpr_workgroup_info 0
		.amdhsa_system_vgpr_workitem_id 0
		.amdhsa_next_free_vgpr 210
		.amdhsa_next_free_sgpr 58
		.amdhsa_reserve_vcc 1
		.amdhsa_float_round_mode_32 0
		.amdhsa_float_round_mode_16_64 0
		.amdhsa_float_denorm_mode_32 3
		.amdhsa_float_denorm_mode_16_64 3
		.amdhsa_fp16_overflow 0
		.amdhsa_workgroup_processor_mode 1
		.amdhsa_memory_ordered 1
		.amdhsa_forward_progress 0
		.amdhsa_round_robin_scheduling 0
		.amdhsa_exception_fp_ieee_invalid_op 0
		.amdhsa_exception_fp_denorm_src 0
		.amdhsa_exception_fp_ieee_div_zero 0
		.amdhsa_exception_fp_ieee_overflow 0
		.amdhsa_exception_fp_ieee_underflow 0
		.amdhsa_exception_fp_ieee_inexact 0
		.amdhsa_exception_int_div_zero 0
	.end_amdhsa_kernel
	.text
.Lfunc_end0:
	.size	fft_rtc_fwd_len1122_factors_17_11_6_wgs_204_tpt_102_halfLds_dp_ip_CI_sbrr_dirReg, .Lfunc_end0-fft_rtc_fwd_len1122_factors_17_11_6_wgs_204_tpt_102_halfLds_dp_ip_CI_sbrr_dirReg
                                        ; -- End function
	.section	.AMDGPU.csdata,"",@progbits
; Kernel info:
; codeLenInByte = 12576
; NumSgprs: 60
; NumVgprs: 210
; ScratchSize: 0
; MemoryBound: 1
; FloatMode: 240
; IeeeMode: 1
; LDSByteSize: 0 bytes/workgroup (compile time only)
; SGPRBlocks: 7
; VGPRBlocks: 26
; NumSGPRsForWavesPerEU: 60
; NumVGPRsForWavesPerEU: 210
; Occupancy: 7
; WaveLimiterHint : 1
; COMPUTE_PGM_RSRC2:SCRATCH_EN: 0
; COMPUTE_PGM_RSRC2:USER_SGPR: 2
; COMPUTE_PGM_RSRC2:TRAP_HANDLER: 0
; COMPUTE_PGM_RSRC2:TGID_X_EN: 1
; COMPUTE_PGM_RSRC2:TGID_Y_EN: 0
; COMPUTE_PGM_RSRC2:TGID_Z_EN: 0
; COMPUTE_PGM_RSRC2:TIDIG_COMP_CNT: 0
	.text
	.p2alignl 7, 3214868480
	.fill 96, 4, 3214868480
	.type	__hip_cuid_23d6dd4e087db314,@object ; @__hip_cuid_23d6dd4e087db314
	.section	.bss,"aw",@nobits
	.globl	__hip_cuid_23d6dd4e087db314
__hip_cuid_23d6dd4e087db314:
	.byte	0                               ; 0x0
	.size	__hip_cuid_23d6dd4e087db314, 1

	.ident	"AMD clang version 19.0.0git (https://github.com/RadeonOpenCompute/llvm-project roc-6.4.0 25133 c7fe45cf4b819c5991fe208aaa96edf142730f1d)"
	.section	".note.GNU-stack","",@progbits
	.addrsig
	.addrsig_sym __hip_cuid_23d6dd4e087db314
	.amdgpu_metadata
---
amdhsa.kernels:
  - .args:
      - .actual_access:  read_only
        .address_space:  global
        .offset:         0
        .size:           8
        .value_kind:     global_buffer
      - .offset:         8
        .size:           8
        .value_kind:     by_value
      - .actual_access:  read_only
        .address_space:  global
        .offset:         16
        .size:           8
        .value_kind:     global_buffer
      - .actual_access:  read_only
        .address_space:  global
        .offset:         24
        .size:           8
        .value_kind:     global_buffer
      - .offset:         32
        .size:           8
        .value_kind:     by_value
      - .actual_access:  read_only
        .address_space:  global
        .offset:         40
        .size:           8
        .value_kind:     global_buffer
      - .actual_access:  read_only
        .address_space:  global
        .offset:         48
        .size:           8
        .value_kind:     global_buffer
      - .offset:         56
        .size:           4
        .value_kind:     by_value
      - .actual_access:  read_only
        .address_space:  global
        .offset:         64
        .size:           8
        .value_kind:     global_buffer
      - .actual_access:  read_only
        .address_space:  global
        .offset:         72
        .size:           8
        .value_kind:     global_buffer
      - .address_space:  global
        .offset:         80
        .size:           8
        .value_kind:     global_buffer
    .group_segment_fixed_size: 0
    .kernarg_segment_align: 8
    .kernarg_segment_size: 88
    .language:       OpenCL C
    .language_version:
      - 2
      - 0
    .max_flat_workgroup_size: 204
    .name:           fft_rtc_fwd_len1122_factors_17_11_6_wgs_204_tpt_102_halfLds_dp_ip_CI_sbrr_dirReg
    .private_segment_fixed_size: 0
    .sgpr_count:     60
    .sgpr_spill_count: 0
    .symbol:         fft_rtc_fwd_len1122_factors_17_11_6_wgs_204_tpt_102_halfLds_dp_ip_CI_sbrr_dirReg.kd
    .uniform_work_group_size: 1
    .uses_dynamic_stack: false
    .vgpr_count:     210
    .vgpr_spill_count: 0
    .wavefront_size: 32
    .workgroup_processor_mode: 1
amdhsa.target:   amdgcn-amd-amdhsa--gfx1201
amdhsa.version:
  - 1
  - 2
...

	.end_amdgpu_metadata
